;; amdgpu-corpus repo=ROCm/rocFFT kind=compiled arch=gfx1100 opt=O3
	.text
	.amdgcn_target "amdgcn-amd-amdhsa--gfx1100"
	.amdhsa_code_object_version 6
	.protected	bluestein_single_fwd_len3750_dim1_sp_op_CI_CI ; -- Begin function bluestein_single_fwd_len3750_dim1_sp_op_CI_CI
	.globl	bluestein_single_fwd_len3750_dim1_sp_op_CI_CI
	.p2align	8
	.type	bluestein_single_fwd_len3750_dim1_sp_op_CI_CI,@function
bluestein_single_fwd_len3750_dim1_sp_op_CI_CI: ; @bluestein_single_fwd_len3750_dim1_sp_op_CI_CI
; %bb.0:
	s_load_b128 s[16:19], s[0:1], 0x28
	v_mul_u32_u24_e32 v1, 0x20d, v0
	s_mov_b32 s2, exec_lo
	v_mov_b32_e32 v3, 0
	s_delay_alu instid0(VALU_DEP_2) | instskip(NEXT) | instid1(VALU_DEP_1)
	v_lshrrev_b32_e32 v1, 16, v1
	v_add_nc_u32_e32 v2, s15, v1
	s_waitcnt lgkmcnt(0)
	s_delay_alu instid0(VALU_DEP_1)
	v_cmpx_gt_u64_e64 s[16:17], v[2:3]
	s_cbranch_execz .LBB0_2
; %bb.1:
	s_clause 0x1
	s_load_b128 s[4:7], s[0:1], 0x18
	s_load_b128 s[8:11], s[0:1], 0x0
	v_mul_lo_u16 v1, 0x7d, v1
	s_load_b64 s[0:1], s[0:1], 0x38
	v_mov_b32_e32 v10, v2
	s_delay_alu instid0(VALU_DEP_2) | instskip(SKIP_2) | instid1(VALU_DEP_1)
	v_sub_nc_u16 v171, v0, v1
	scratch_store_b64 off, v[10:11], off    ; 8-byte Folded Spill
	v_and_b32_e32 v101, 0xffff, v171
	v_lshlrev_b32_e32 v209, 3, v101
	v_add_co_u32 v162, null, 0xfa, v101
	s_waitcnt lgkmcnt(0)
	s_load_b128 s[12:15], s[4:5], 0x0
	s_clause 0x1
	global_load_b64 v[34:35], v209, s[8:9]
	global_load_b64 v[36:37], v209, s[8:9] offset:1000
	v_add_co_u32 v204, s2, s8, v209
	s_delay_alu instid0(VALU_DEP_1) | instskip(SKIP_1) | instid1(VALU_DEP_3)
	v_add_co_ci_u32_e64 v205, null, s9, 0, s2
	v_add_co_u32 v172, null, 0x177, v101
	v_add_co_u32 v0, vcc_lo, 0x4000, v204
	s_delay_alu instid0(VALU_DEP_3)
	v_add_co_ci_u32_e32 v1, vcc_lo, 0, v205, vcc_lo
	v_add_co_u32 v217, null, 0x1f4, v101
	v_add_co_u32 v229, null, 0x271, v101
	s_waitcnt lgkmcnt(0)
	v_mad_u64_u32 v[4:5], null, s14, v2, 0
	v_mad_u64_u32 v[6:7], null, s12, v101, 0
	v_add_co_u32 v2, vcc_lo, 0x2000, v204
	v_add_co_ci_u32_e32 v3, vcc_lo, 0, v205, vcc_lo
	s_clause 0x1
	global_load_b64 v[32:33], v[0:1], off offset:3616
	global_load_b64 v[38:39], v[2:3], off offset:1808
	v_mad_u64_u32 v[8:9], null, s15, v10, v[5:6]
	s_mul_i32 s3, s13, 0x2710
	s_mul_hi_u32 s5, s12, 0x2710
	s_mul_i32 s2, s12, 0x2710
	s_add_i32 s3, s5, s3
	s_mul_hi_u32 s14, s12, 0xffffb5c8
	s_mul_i32 s4, s12, 0xffffb5c8
	s_delay_alu instid0(VALU_DEP_1)
	v_mad_u64_u32 v[9:10], null, s13, v101, v[7:8]
	v_mov_b32_e32 v5, v8
	s_mulk_i32 s13, 0xb5c8
	s_sub_i32 s5, s14, s12
	global_load_b64 v[52:53], v[2:3], off offset:2808
	s_add_i32 s5, s5, s13
	v_lshlrev_b64 v[4:5], 3, v[4:5]
	v_mov_b32_e32 v7, v9
	s_delay_alu instid0(VALU_DEP_2) | instskip(NEXT) | instid1(VALU_DEP_2)
	v_add_co_u32 v4, vcc_lo, s18, v4
	v_lshlrev_b64 v[6:7], 3, v[6:7]
	s_delay_alu instid0(VALU_DEP_4) | instskip(NEXT) | instid1(VALU_DEP_2)
	v_add_co_ci_u32_e32 v5, vcc_lo, s19, v5, vcc_lo
	v_add_co_u32 v4, vcc_lo, v4, v6
	s_delay_alu instid0(VALU_DEP_2) | instskip(NEXT) | instid1(VALU_DEP_2)
	v_add_co_ci_u32_e32 v5, vcc_lo, v5, v7, vcc_lo
	v_add_co_u32 v6, vcc_lo, v4, s2
	global_load_b64 v[8:9], v[4:5], off
	v_add_co_ci_u32_e32 v7, vcc_lo, s3, v5, vcc_lo
	v_add_co_u32 v10, vcc_lo, v6, s2
	s_delay_alu instid0(VALU_DEP_2) | instskip(NEXT) | instid1(VALU_DEP_2)
	v_add_co_ci_u32_e32 v11, vcc_lo, s3, v7, vcc_lo
	v_add_co_u32 v12, vcc_lo, v10, s4
	global_load_b64 v[4:5], v[6:7], off
	v_add_co_ci_u32_e32 v13, vcc_lo, s5, v11, vcc_lo
	global_load_b64 v[6:7], v[10:11], off
	v_add_co_u32 v10, vcc_lo, v12, s2
	v_add_co_ci_u32_e32 v11, vcc_lo, s3, v13, vcc_lo
	global_load_b64 v[12:13], v[12:13], off
	v_add_co_u32 v14, vcc_lo, v10, s2
	v_add_co_ci_u32_e32 v15, vcc_lo, s3, v11, vcc_lo
	global_load_b64 v[10:11], v[10:11], off
	v_add_co_u32 v16, vcc_lo, v14, s4
	v_add_co_ci_u32_e32 v17, vcc_lo, s5, v15, vcc_lo
	s_delay_alu instid0(VALU_DEP_2) | instskip(NEXT) | instid1(VALU_DEP_2)
	v_add_co_u32 v18, vcc_lo, v16, s2
	v_add_co_ci_u32_e32 v19, vcc_lo, s3, v17, vcc_lo
	v_add_co_u32 v22, vcc_lo, 0x5000, v204
	v_add_co_ci_u32_e32 v23, vcc_lo, 0, v205, vcc_lo
	global_load_b64 v[44:45], v[2:3], off offset:3808
	global_load_b64 v[20:21], v[18:19], off
	v_add_co_u32 v24, vcc_lo, 0x3000, v204
	v_add_co_ci_u32_e32 v25, vcc_lo, 0, v205, vcc_lo
	v_add_co_u32 v18, vcc_lo, v18, s2
	v_add_co_ci_u32_e32 v19, vcc_lo, s3, v19, vcc_lo
	s_waitcnt vmcnt(6)
	v_mul_f32_e32 v28, v9, v35
	s_clause 0x5
	global_load_b64 v[54:55], v209, s[8:9] offset:2000
	global_load_b64 v[50:51], v209, s[8:9] offset:3000
	global_load_b64 v[56:57], v[22:23], off offset:520
	global_load_b64 v[46:47], v[22:23], off offset:1520
	;; [unrolled: 1-line block ×4, first 2 shown]
	v_add_co_u32 v2, vcc_lo, v18, s4
	v_add_co_ci_u32_e32 v3, vcc_lo, s5, v19, vcc_lo
	global_load_b64 v[42:43], v[0:1], off offset:2616
	global_load_b64 v[14:15], v[14:15], off
	global_load_b64 v[16:17], v[16:17], off
	;; [unrolled: 1-line block ×4, first 2 shown]
	v_mul_f32_e32 v29, v8, v35
	scratch_store_b64 off, v[34:35], off offset:232 ; 8-byte Folded Spill
	s_waitcnt vmcnt(16)
	v_mul_f32_e32 v31, v4, v39
	v_mul_f32_e32 v30, v5, v39
	v_fmac_f32_e32 v28, v8, v34
	v_fma_f32 v29, v9, v34, -v29
	v_dual_mov_b32 v35, v33 :: v_dual_mov_b32 v34, v32
	v_add_co_u32 v2, vcc_lo, v2, s2
	v_add_co_ci_u32_e32 v3, vcc_lo, s3, v3, vcc_lo
	s_waitcnt vmcnt(15)
	s_delay_alu instid0(VALU_DEP_3)
	v_dual_mul_f32 v9, v6, v35 :: v_dual_fmac_f32 v30, v4, v38
	s_waitcnt vmcnt(14)
	v_mul_f32_e32 v4, v13, v37
	v_fma_f32 v31, v5, v38, -v31
	v_dual_mul_f32 v5, v12, v37 :: v_dual_mul_f32 v8, v7, v35
	v_add_co_u32 v32, vcc_lo, v2, s2
	v_add_co_ci_u32_e32 v33, vcc_lo, s3, v3, vcc_lo
	s_delay_alu instid0(VALU_DEP_3)
	v_fma_f32 v5, v13, v36, -v5
	s_waitcnt vmcnt(13)
	v_dual_mul_f32 v13, v10, v53 :: v_dual_fmac_f32 v4, v12, v36
	v_fma_f32 v9, v7, v34, -v9
	v_fmac_f32_e32 v8, v6, v34
	v_add_co_u32 v6, vcc_lo, v32, s4
	s_clause 0x3
	scratch_store_b64 off, v[34:35], off offset:184
	scratch_store_b64 off, v[52:53], off offset:192
	;; [unrolled: 1-line block ×4, first 2 shown]
	global_load_b64 v[2:3], v[2:3], off
	v_add_co_ci_u32_e32 v7, vcc_lo, s5, v33, vcc_lo
	ds_store_b64 v209, v[30:31] offset:10000
	ds_store_b64 v209, v[8:9] offset:20000
	v_mul_f32_e32 v8, v11, v53
	v_fma_f32 v9, v11, v52, -v13
	s_waitcnt vmcnt(12)
	v_mul_f32_e32 v11, v21, v45
	v_mul_f32_e32 v12, v20, v45
	v_add_co_u32 v30, vcc_lo, v6, s2
	v_add_co_ci_u32_e32 v31, vcc_lo, s3, v7, vcc_lo
	s_delay_alu instid0(VALU_DEP_4)
	v_fmac_f32_e32 v11, v20, v44
	v_fmac_f32_e32 v8, v10, v52
	v_fma_f32 v12, v21, v44, -v12
	v_add_nc_u32_e32 v10, 0x2800, v209
	scratch_store_b64 off, v[44:45], off offset:152 ; 8-byte Folded Spill
	ds_store_2addr_b64 v209, v[28:29], v[4:5] offset1:125
	global_load_b64 v[34:35], v[24:25], off offset:1712
	global_load_b64 v[20:21], v[30:31], off
	s_clause 0x1
	global_load_b64 v[36:37], v[22:23], off offset:2520
	global_load_b64 v[22:23], v[22:23], off offset:3520
	ds_store_2addr_b64 v10, v[8:9], v[11:12] offset0:95 offset1:220
	v_add_nc_u32_e32 v200, 0x5400, v209
	v_add_nc_u32_e32 v202, 0x3c00, v209
	;; [unrolled: 1-line block ×4, first 2 shown]
	s_waitcnt vmcnt(15)
	scratch_store_b64 off, v[54:55], off offset:208 ; 8-byte Folded Spill
	s_waitcnt vmcnt(14)
	scratch_store_b64 off, v[50:51], off offset:176 ; 8-byte Folded Spill
	s_waitcnt vmcnt(12)
	s_clause 0x1
	scratch_store_b64 off, v[46:47], off offset:144
	scratch_store_b64 off, v[56:57], off offset:200
	s_waitcnt vmcnt(8)
	v_mul_f32_e32 v5, v14, v57
	s_waitcnt vmcnt(6)
	v_dual_mul_f32 v4, v15, v57 :: v_dual_mul_f32 v9, v18, v47
	v_dual_mul_f32 v8, v19, v47 :: v_dual_add_nc_u32 v13, 0x5000, v209
	s_delay_alu instid0(VALU_DEP_3) | instskip(NEXT) | instid1(VALU_DEP_3)
	v_fma_f32 v5, v15, v56, -v5
	v_fmac_f32_e32 v4, v14, v56
	s_delay_alu instid0(VALU_DEP_4) | instskip(NEXT) | instid1(VALU_DEP_4)
	v_fma_f32 v9, v19, v46, -v9
	v_dual_fmac_f32 v8, v18, v46 :: v_dual_mul_f32 v11, v16, v55
	v_mul_f32_e32 v10, v17, v55
	ds_store_2addr_b64 v13, v[4:5], v[8:9] offset0:65 offset1:190
	v_fma_f32 v11, v17, v54, -v11
	v_fmac_f32_e32 v10, v16, v54
	s_clause 0x2
	global_load_b64 v[16:17], v209, s[8:9] offset:4000
	global_load_b64 v[28:29], v[24:25], off offset:2712
	global_load_b64 v[18:19], v[24:25], off offset:3712
	global_load_b64 v[8:9], v[32:33], off
	global_load_b64 v[6:7], v[6:7], off
	s_waitcnt vmcnt(10)
	v_mul_f32_e32 v12, v26, v51
	v_mul_f32_e32 v4, v27, v51
	v_add_nc_u32_e32 v210, 0x400, v209
	s_delay_alu instid0(VALU_DEP_2) | instskip(SKIP_3) | instid1(VALU_DEP_2)
	v_fmac_f32_e32 v4, v26, v50
	s_waitcnt vmcnt(9)
	v_mul_f32_e32 v15, v2, v49
	v_mul_f32_e32 v14, v3, v49
	v_fma_f32 v15, v3, v48, -v15
	s_delay_alu instid0(VALU_DEP_2)
	v_fmac_f32_e32 v14, v2, v48
	s_waitcnt vmcnt(8)
	scratch_store_b64 off, v[34:35], off offset:96 ; 8-byte Folded Spill
	s_waitcnt vmcnt(7)
	v_mul_f32_e32 v3, v20, v35
	s_waitcnt vmcnt(5)
	scratch_store_b64 off, v[22:23], off offset:104 ; 8-byte Folded Spill
	v_mul_f32_e32 v2, v21, v35
	s_clause 0x1
	scratch_store_b64 off, v[48:49], off offset:168
	scratch_store_b64 off, v[36:37], off offset:160
	v_fma_f32 v3, v21, v34, -v3
	v_fmac_f32_e32 v2, v20, v34
	ds_store_2addr_b64 v39, v[14:15], v[2:3] offset0:89 offset1:214
	s_waitcnt vmcnt(1)
	v_mul_f32_e32 v15, v8, v37
	v_fma_f32 v5, v27, v50, -v12
	v_add_co_u32 v12, vcc_lo, v30, s2
	v_add_co_ci_u32_e32 v13, vcc_lo, s3, v31, vcc_lo
	v_mov_b32_e32 v27, v17
	ds_store_2addr_b64 v210, v[10:11], v[4:5] offset0:122 offset1:247
	v_add_co_u32 v10, vcc_lo, 0x1000, v204
	global_load_b64 v[4:5], v[12:13], off
	v_add_co_ci_u32_e32 v11, vcc_lo, 0, v205, vcc_lo
	v_add_co_u32 v12, vcc_lo, v12, s4
	v_add_co_ci_u32_e32 v13, vcc_lo, s5, v13, vcc_lo
	global_load_b64 v[24:25], v[10:11], off offset:904
	v_mul_f32_e32 v14, v9, v37
	v_fma_f32 v15, v9, v36, -v15
	global_load_b64 v[2:3], v[12:13], off
	v_mov_b32_e32 v26, v16
	v_add_co_u32 v12, vcc_lo, v12, s2
	v_fmac_f32_e32 v14, v8, v36
	v_add_nc_u32_e32 v16, 0x5800, v209
	v_add_co_ci_u32_e32 v13, vcc_lo, s3, v13, vcc_lo
	scratch_store_b64 off, v[26:27], off offset:492 ; 8-byte Folded Spill
	s_waitcnt vmcnt(2)
	v_mul_f32_e32 v8, v5, v23
	v_mul_f32_e32 v9, v4, v23
	s_delay_alu instid0(VALU_DEP_2) | instskip(SKIP_1) | instid1(VALU_DEP_3)
	v_fmac_f32_e32 v8, v4, v22
	v_mul_f32_e32 v4, v7, v27
	v_fma_f32 v9, v5, v22, -v9
	v_mul_f32_e32 v5, v6, v27
	s_delay_alu instid0(VALU_DEP_3) | instskip(SKIP_2) | instid1(VALU_DEP_3)
	v_fmac_f32_e32 v4, v6, v26
	s_waitcnt vmcnt(0)
	v_mul_f32_e32 v6, v2, v25
	v_fma_f32 v5, v7, v26, -v5
	ds_store_2addr_b64 v16, v[14:15], v[8:9] offset0:59 offset1:184
	s_clause 0x2
	global_load_b64 v[22:23], v[10:11], off offset:1904
	global_load_b64 v[20:21], v[10:11], off offset:2904
	global_load_b64 v[16:17], v[10:11], off offset:3904
	s_clause 0x2
	scratch_store_b64 off, v[24:25], off offset:120
	scratch_store_b64 off, v[28:29], off offset:112
	;; [unrolled: 1-line block ×3, first 2 shown]
	v_fma_f32 v7, v3, v24, -v6
	v_mul_f32_e32 v6, v3, v25
	s_delay_alu instid0(VALU_DEP_1) | instskip(SKIP_1) | instid1(VALU_DEP_2)
	v_dual_fmac_f32 v6, v2, v24 :: v_dual_add_nc_u32 v25, 0x6400, v209
	v_add_nc_u32_e32 v2, 0xc00, v209
	v_mov_b32_e32 v102, v25
	ds_store_2addr_b64 v2, v[4:5], v[6:7] offset0:116 offset1:241
	v_mov_b32_e32 v24, v2
	global_load_b64 v[2:3], v[12:13], off
	v_add_co_u32 v4, vcc_lo, v12, s2
	v_add_co_ci_u32_e32 v5, vcc_lo, s3, v13, vcc_lo
	s_waitcnt vmcnt(0)
	v_mul_f32_e32 v6, v3, v29
	v_mul_f32_e32 v7, v2, v29
	s_delay_alu instid0(VALU_DEP_2) | instskip(SKIP_1) | instid1(VALU_DEP_3)
	v_fmac_f32_e32 v6, v2, v28
	v_add_co_u32 v2, vcc_lo, v4, s4
	v_fma_f32 v7, v3, v28, -v7
	v_add_co_ci_u32_e32 v3, vcc_lo, s5, v5, vcc_lo
	s_delay_alu instid0(VALU_DEP_3) | instskip(NEXT) | instid1(VALU_DEP_2)
	v_add_co_u32 v8, vcc_lo, v2, s2
	v_add_co_ci_u32_e32 v9, vcc_lo, s3, v3, vcc_lo
	global_load_b64 v[10:11], v[8:9], off
	s_waitcnt vmcnt(0)
	v_mul_f32_e32 v12, v10, v19
	s_delay_alu instid0(VALU_DEP_1) | instskip(SKIP_1) | instid1(VALU_DEP_1)
	v_fma_f32 v12, v11, v18, -v12
	v_mul_f32_e32 v11, v11, v19
	v_dual_fmac_f32 v11, v10, v18 :: v_dual_add_nc_u32 v10, 0x3800, v209
	ds_store_2addr_b64 v10, v[6:7], v[11:12] offset0:83 offset1:208
	v_add_co_u32 v6, vcc_lo, v8, s2
	v_add_co_ci_u32_e32 v7, vcc_lo, s3, v9, vcc_lo
	v_add_co_u32 v8, vcc_lo, 0x6000, v204
	v_add_co_ci_u32_e32 v9, vcc_lo, 0, v205, vcc_lo
	global_load_b64 v[4:5], v[4:5], off
	s_clause 0x1
	global_load_b64 v[10:11], v[8:9], off offset:424
	global_load_b64 v[14:15], v[8:9], off offset:1424
	s_waitcnt vmcnt(1)
	scratch_store_b64 off, v[10:11], off offset:136 ; 8-byte Folded Spill
	s_waitcnt vmcnt(0)
	scratch_store_b64 off, v[14:15], off offset:40 ; 8-byte Folded Spill
	s_clause 0x1
	global_load_b64 v[18:19], v[8:9], off offset:2424
	global_load_b64 v[12:13], v[8:9], off offset:3424
	v_mul_f32_e32 v8, v4, v11
	global_load_b64 v[2:3], v[2:3], off
	s_clause 0x1
	scratch_store_b64 off, v[22:23], off offset:128
	scratch_store_b64 off, v[20:21], off offset:88
	v_fma_f32 v9, v5, v10, -v8
	v_mul_f32_e32 v8, v5, v11
	s_delay_alu instid0(VALU_DEP_1) | instskip(SKIP_3) | instid1(VALU_DEP_1)
	v_fmac_f32_e32 v8, v4, v10
	global_load_b64 v[4:5], v[6:7], off
	s_waitcnt vmcnt(0)
	v_mul_f32_e32 v10, v4, v15
	v_fma_f32 v11, v5, v14, -v10
	v_mul_f32_e32 v10, v5, v15
	s_delay_alu instid0(VALU_DEP_1)
	v_fmac_f32_e32 v10, v4, v14
	v_add_nc_u32_e32 v4, 0x6000, v209
	ds_store_2addr_b64 v4, v[8:9], v[10:11] offset0:53 offset1:178
	v_add_co_u32 v4, vcc_lo, v6, s4
	v_mul_f32_e32 v6, v2, v23
	v_add_co_ci_u32_e32 v5, vcc_lo, s5, v7, vcc_lo
	s_delay_alu instid0(VALU_DEP_2) | instskip(SKIP_1) | instid1(VALU_DEP_1)
	v_fma_f32 v7, v3, v22, -v6
	v_mul_f32_e32 v6, v3, v23
	v_fmac_f32_e32 v6, v2, v22
	global_load_b64 v[2:3], v[4:5], off
	s_waitcnt vmcnt(0)
	v_mul_f32_e32 v8, v2, v21
	s_delay_alu instid0(VALU_DEP_1) | instskip(SKIP_1) | instid1(VALU_DEP_1)
	v_fma_f32 v9, v3, v20, -v8
	v_mul_f32_e32 v8, v3, v21
	v_dual_fmac_f32 v8, v2, v20 :: v_dual_add_nc_u32 v21, 0x5c00, v209
	s_delay_alu instid0(VALU_DEP_1)
	v_dual_mov_b32 v89, v21 :: v_dual_add_nc_u32 v2, 0x1400, v209
	ds_store_2addr_b64 v2, v[6:7], v[8:9] offset0:110 offset1:235
	v_mov_b32_e32 v22, v2
	v_add_co_u32 v2, vcc_lo, v4, s2
	v_add_co_ci_u32_e32 v3, vcc_lo, s3, v5, vcc_lo
	v_mov_b32_e32 v161, v89
	s_delay_alu instid0(VALU_DEP_3) | instskip(NEXT) | instid1(VALU_DEP_3)
	v_add_co_u32 v4, vcc_lo, v2, s2
	v_add_co_ci_u32_e32 v5, vcc_lo, s3, v3, vcc_lo
	global_load_b64 v[2:3], v[2:3], off
	s_clause 0x1
	global_load_b64 v[6:7], v[0:1], off offset:616
	global_load_b64 v[14:15], v[0:1], off offset:1616
	s_clause 0x4
	scratch_store_b64 off, v[18:19], off offset:64
	scratch_store_b64 off, v[16:17], off offset:72
	;; [unrolled: 1-line block ×5, first 2 shown]
	s_waitcnt vmcnt(1)
	v_mul_f32_e32 v0, v2, v7
	scratch_store_b64 off, v[6:7], off offset:80 ; 8-byte Folded Spill
	s_waitcnt vmcnt(0)
	scratch_store_b64 off, v[14:15], off offset:8 ; 8-byte Folded Spill
	v_fma_f32 v1, v3, v6, -v0
	v_mul_f32_e32 v0, v3, v7
	s_delay_alu instid0(VALU_DEP_1)
	v_fmac_f32_e32 v0, v2, v6
	v_add_co_u32 v2, vcc_lo, v4, s4
	v_add_co_ci_u32_e32 v3, vcc_lo, s5, v5, vcc_lo
	global_load_b64 v[4:5], v[4:5], off
	v_add_co_u32 v6, vcc_lo, v2, s2
	v_add_co_ci_u32_e32 v7, vcc_lo, s3, v3, vcc_lo
	global_load_b64 v[2:3], v[2:3], off
	global_load_b64 v[8:9], v[6:7], off
	s_waitcnt vmcnt(0)
	v_mul_f32_e32 v10, v8, v15
	s_delay_alu instid0(VALU_DEP_1) | instskip(SKIP_1) | instid1(VALU_DEP_1)
	v_fma_f32 v10, v9, v14, -v10
	v_mul_f32_e32 v9, v9, v15
	v_dual_fmac_f32 v9, v8, v14 :: v_dual_add_nc_u32 v8, 0x4000, v209
	ds_store_2addr_b64 v8, v[0:1], v[9:10] offset0:77 offset1:202
	v_add_co_u32 v0, vcc_lo, v6, s2
	v_add_co_ci_u32_e32 v1, vcc_lo, s3, v7, vcc_lo
	v_mul_f32_e32 v6, v4, v19
	global_load_b64 v[7:8], v[0:1], off
	v_add_co_u32 v0, vcc_lo, v0, s4
	v_fma_f32 v6, v5, v18, -v6
	v_mul_f32_e32 v5, v5, v19
	v_add_co_ci_u32_e32 v1, vcc_lo, s5, v1, vcc_lo
	s_waitcnt vmcnt(0)
	s_delay_alu instid0(VALU_DEP_2) | instskip(NEXT) | instid1(VALU_DEP_1)
	v_dual_fmac_f32 v5, v4, v18 :: v_dual_mul_f32 v4, v7, v13
	v_fma_f32 v9, v8, v12, -v4
	v_mul_f32_e32 v8, v8, v13
	v_add_nc_u32_e32 v4, 0x6800, v209
	s_delay_alu instid0(VALU_DEP_2) | instskip(NEXT) | instid1(VALU_DEP_1)
	v_dual_fmac_f32 v8, v7, v12 :: v_dual_add_nc_u32 v13, 0x4c00, v209
	v_mov_b32_e32 v203, v13
	ds_store_2addr_b64 v4, v[5:6], v[8:9] offset0:47 offset1:172
	global_load_b64 v[5:6], v[0:1], off
	v_mul_f32_e32 v4, v2, v17
	v_add_co_u32 v0, vcc_lo, v0, s2
	v_add_co_ci_u32_e32 v1, vcc_lo, s3, v1, vcc_lo
	s_delay_alu instid0(VALU_DEP_3) | instskip(SKIP_1) | instid1(VALU_DEP_1)
	v_fma_f32 v4, v3, v16, -v4
	v_mul_f32_e32 v3, v3, v17
	v_dual_fmac_f32 v3, v2, v16 :: v_dual_add_nc_u32 v8, 0x2400, v209
	s_delay_alu instid0(VALU_DEP_1) | instskip(SKIP_2) | instid1(VALU_DEP_1)
	v_mov_b32_e32 v118, v8
	s_waitcnt vmcnt(0)
	v_mul_f32_e32 v2, v5, v41
	v_fma_f32 v7, v6, v40, -v2
	v_mul_f32_e32 v6, v6, v41
	v_add_nc_u32_e32 v2, 0x1c00, v209
	s_delay_alu instid0(VALU_DEP_2) | instskip(NEXT) | instid1(VALU_DEP_2)
	v_fmac_f32_e32 v6, v5, v40
	v_mov_b32_e32 v26, v2
	ds_store_2addr_b64 v2, v[3:4], v[6:7] offset0:104 offset1:229
	v_add_co_u32 v2, vcc_lo, v0, s2
	v_add_co_ci_u32_e32 v3, vcc_lo, s3, v1, vcc_lo
	global_load_b64 v[0:1], v[0:1], off
	v_add_co_u32 v239, vcc_lo, 0x7000, v204
	v_add_co_ci_u32_e32 v240, vcc_lo, 0, v205, vcc_lo
	v_mov_b32_e32 v103, v26
	v_cmp_gt_u16_e64 vcc_lo, 0x4b, v171
	s_waitcnt vmcnt(0)
	v_mul_f32_e32 v4, v0, v43
	s_delay_alu instid0(VALU_DEP_1) | instskip(SKIP_1) | instid1(VALU_DEP_1)
	v_fma_f32 v5, v1, v42, -v4
	v_mul_f32_e32 v4, v1, v43
	v_fmac_f32_e32 v4, v0, v42
	global_load_b64 v[0:1], v[2:3], off
	global_load_b64 v[6:7], v[239:240], off offset:328
	s_waitcnt vmcnt(0)
	v_mul_f32_e32 v2, v0, v7
	scratch_store_b64 off, v[6:7], off offset:24 ; 8-byte Folded Spill
	v_fma_f32 v2, v1, v6, -v2
	v_mul_f32_e32 v1, v1, v7
	s_delay_alu instid0(VALU_DEP_1)
	v_fmac_f32_e32 v1, v0, v6
	ds_store_b64 v209, v[4:5] offset:19000
	ds_store_b64 v209, v[1:2] offset:29000
	s_load_b128 s[4:7], s[6:7], 0x0
	s_waitcnt lgkmcnt(0)
	s_waitcnt_vscnt null, 0x0
	s_barrier
	buffer_gl0_inv
	ds_load_2addr_b64 v[0:3], v209 offset1:125
	ds_load_2addr_b64 v[4:7], v8 offset0:98 offset1:223
	ds_load_2addr_b64 v[8:11], v13 offset0:68 offset1:193
	s_mul_hi_u32 s3, s4, 0x2710
	s_waitcnt lgkmcnt(1)
	v_add_f32_e32 v12, v0, v4
	s_waitcnt lgkmcnt(0)
	v_dual_sub_f32 v47, v4, v8 :: v_dual_add_f32 v46, v5, v9
	v_dual_add_f32 v50, v7, v11 :: v_dual_sub_f32 v45, v5, v9
	v_add_f32_e32 v13, v1, v5
	v_add_f32_e32 v5, v3, v7
	v_dual_sub_f32 v51, v6, v10 :: v_dual_add_f32 v28, v12, v8
	s_delay_alu instid0(VALU_DEP_4)
	v_dual_fmac_f32 v3, -0.5, v50 :: v_dual_add_nc_u32 v12, 0x2c00, v209
	v_fma_f32 v1, -0.5, v46, v1
	v_add_f32_e32 v44, v4, v8
	v_add_f32_e32 v4, v2, v6
	v_dual_add_f32 v48, v6, v10 :: v_dual_sub_f32 v49, v7, v11
	v_add_f32_e32 v29, v13, v9
	s_delay_alu instid0(VALU_DEP_3)
	v_dual_add_f32 v31, v5, v11 :: v_dual_add_f32 v30, v4, v10
	ds_load_2addr_b64 v[4:7], v210 offset0:122 offset1:247
	ds_load_2addr_b64 v[8:11], v12 offset0:92 offset1:217
	v_mov_b32_e32 v91, v12
	ds_load_2addr_b64 v[12:15], v200 offset0:62 offset1:187
	v_mov_b32_e32 v119, v24
	s_waitcnt lgkmcnt(1)
	v_add_f32_e32 v17, v5, v9
	s_waitcnt lgkmcnt(0)
	v_sub_f32_e32 v55, v8, v12
	v_add_f32_e32 v16, v4, v8
	v_dual_add_f32 v52, v8, v12 :: v_dual_sub_f32 v53, v9, v13
	v_add_f32_e32 v8, v6, v10
	v_sub_f32_e32 v60, v10, v14
	v_dual_add_f32 v54, v9, v13 :: v_dual_add_f32 v9, v7, v11
	v_add_f32_e32 v32, v16, v12
	v_add_nc_u32_e32 v16, 0x3400, v209
	v_add_f32_e32 v56, v10, v14
	v_sub_f32_e32 v58, v11, v15
	v_add_f32_e32 v59, v11, v15
	v_dual_add_f32 v33, v17, v13 :: v_dual_add_f32 v34, v8, v14
	v_add_f32_e32 v35, v9, v15
	ds_load_2addr_b64 v[8:11], v24 offset0:116 offset1:241
	ds_load_2addr_b64 v[12:15], v16 offset0:86 offset1:211
	v_mov_b32_e32 v116, v16
	ds_load_2addr_b64 v[16:19], v21 offset0:56 offset1:181
	v_fma_f32 v6, -0.5, v56, v6
	v_fmac_f32_e32 v7, -0.5, v59
	s_waitcnt lgkmcnt(1)
	v_dual_add_f32 v20, v8, v12 :: v_dual_and_b32 v59, 0xffff, v162
	v_add_f32_e32 v21, v9, v13
	s_waitcnt lgkmcnt(0)
	v_dual_add_f32 v61, v12, v16 :: v_dual_sub_f32 v62, v13, v17
	v_dual_add_f32 v63, v13, v17 :: v_dual_sub_f32 v64, v12, v16
	v_dual_add_f32 v12, v10, v14 :: v_dual_add_f32 v13, v11, v15
	v_dual_add_f32 v65, v14, v18 :: v_dual_sub_f32 v66, v15, v19
	v_dual_add_f32 v67, v15, v19 :: v_dual_sub_f32 v68, v14, v18
	v_dual_add_f32 v36, v20, v16 :: v_dual_add_f32 v37, v21, v17
	s_delay_alu instid0(VALU_DEP_4)
	v_dual_add_f32 v38, v12, v18 :: v_dual_add_f32 v39, v13, v19
	ds_load_2addr_b64 v[12:15], v22 offset0:110 offset1:235
	ds_load_2addr_b64 v[16:19], v202 offset0:80 offset1:205
	v_mov_b32_e32 v90, v22
	ds_load_2addr_b64 v[20:23], v25 offset0:50 offset1:175
	v_fma_f32 v10, -0.5, v65, v10
	s_waitcnt lgkmcnt(1)
	v_dual_fmac_f32 v11, -0.5, v67 :: v_dual_add_f32 v24, v12, v16
	v_add_f32_e32 v25, v13, v17
	s_waitcnt lgkmcnt(0)
	v_dual_add_f32 v69, v16, v20 :: v_dual_sub_f32 v70, v17, v21
	v_dual_add_f32 v71, v17, v21 :: v_dual_sub_f32 v72, v16, v20
	v_dual_add_f32 v16, v14, v18 :: v_dual_add_f32 v17, v15, v19
	v_add_f32_e32 v40, v24, v20
	v_dual_add_f32 v73, v18, v22 :: v_dual_add_nc_u32 v24, 0x4400, v209
	v_sub_f32_e32 v74, v19, v23
	v_dual_add_f32 v75, v19, v23 :: v_dual_sub_f32 v76, v18, v22
	v_dual_add_f32 v41, v25, v21 :: v_dual_add_f32 v42, v16, v22
	v_add_f32_e32 v43, v17, v23
	ds_load_2addr_b64 v[16:19], v26 offset0:104 offset1:229
	ds_load_2addr_b64 v[20:23], v24 offset0:74 offset1:199
	v_mov_b32_e32 v88, v24
	ds_load_2addr_b64 v[24:27], v201 offset0:44 offset1:169
	v_fmac_f32_e32 v15, -0.5, v75
	v_fma_f32 v14, -0.5, v73, v14
	s_waitcnt lgkmcnt(1)
	v_dual_add_f32 v82, v18, v22 :: v_dual_add_f32 v79, v17, v21
	s_waitcnt lgkmcnt(0)
	v_add_f32_e32 v83, v22, v26
	v_sub_f32_e32 v87, v22, v26
	s_delay_alu instid0(VALU_DEP_3)
	v_dual_add_f32 v57, v16, v20 :: v_dual_add_f32 v22, v82, v26
	v_mul_lo_u16 v26, v171, 3
	v_sub_f32_e32 v78, v21, v25
	v_add_f32_e32 v80, v21, v25
	v_add_f32_e32 v21, v79, v25
	v_fmamk_f32 v25, v47, 0xbf5db3d7, v1
	v_fma_f32 v0, -0.5, v44, v0
	v_dual_add_f32 v77, v20, v24 :: v_dual_and_b32 v26, 0xffff, v26
	v_sub_f32_e32 v81, v20, v24
	v_add_f32_e32 v20, v57, v24
	s_delay_alu instid0(VALU_DEP_4) | instskip(NEXT) | instid1(VALU_DEP_4)
	v_fmamk_f32 v24, v45, 0x3f5db3d7, v0
	v_lshlrev_b32_e32 v26, 3, v26
	v_add_co_u32 v57, null, 0x7d, v101
	v_fmac_f32_e32 v0, 0xbf5db3d7, v45
	v_fmac_f32_e32 v1, 0x3f5db3d7, v47
	scratch_store_b32 off, v26, off offset:248 ; 4-byte Folded Spill
	s_waitcnt_vscnt null, 0x0
	s_barrier
	buffer_gl0_inv
	ds_store_2addr_b64 v26, v[28:29], v[24:25] offset1:1
	ds_store_b64 v26, v[0:1] offset:16
	v_fmamk_f32 v1, v51, 0xbf5db3d7, v3
	v_fmac_f32_e32 v3, 0x3f5db3d7, v51
	v_fma_f32 v2, -0.5, v48, v2
	v_mul_u32_u24_e32 v24, 3, v57
	v_add_f32_e32 v86, v23, v27
	v_sub_f32_e32 v84, v23, v27
	s_delay_alu instid0(VALU_DEP_4) | instskip(NEXT) | instid1(VALU_DEP_4)
	v_dual_add_f32 v85, v19, v23 :: v_dual_fmamk_f32 v0, v49, 0x3f5db3d7, v2
	v_lshlrev_b32_e32 v24, 3, v24
	v_fmac_f32_e32 v2, 0xbf5db3d7, v49
	v_fma_f32 v18, -0.5, v83, v18
	v_fmac_f32_e32 v19, -0.5, v86
	v_add_f32_e32 v23, v85, v27
	scratch_store_b32 off, v24, off offset:244 ; 4-byte Folded Spill
	ds_store_2addr_b64 v24, v[30:31], v[0:1] offset1:1
	ds_store_b64 v24, v[2:3] offset:16
	v_fma_f32 v0, -0.5, v52, v4
	v_fma_f32 v1, -0.5, v54, v5
	v_mul_u32_u24_e32 v4, 3, v162
	v_and_b32_e32 v25, 0xffff, v217
	v_and_b32_e32 v24, 0xffff, v172
	v_fmamk_f32 v2, v53, 0x3f5db3d7, v0
	s_delay_alu instid0(VALU_DEP_4)
	v_dual_fmamk_f32 v3, v55, 0xbf5db3d7, v1 :: v_dual_lshlrev_b32 v4, 3, v4
	v_fmac_f32_e32 v0, 0xbf5db3d7, v53
	v_fmac_f32_e32 v1, 0x3f5db3d7, v55
	v_and_b32_e32 v26, 0xffff, v229
	scratch_store_b32 off, v4, off offset:252 ; 4-byte Folded Spill
	ds_store_2addr_b64 v4, v[32:33], v[2:3] offset1:1
	ds_store_b64 v4, v[0:1] offset:16
	v_mul_u32_u24_e32 v2, 3, v172
	v_fmamk_f32 v0, v58, 0x3f5db3d7, v6
	v_dual_fmamk_f32 v1, v60, 0xbf5db3d7, v7 :: v_dual_fmac_f32 v6, 0xbf5db3d7, v58
	s_delay_alu instid0(VALU_DEP_3)
	v_dual_fmac_f32 v7, 0x3f5db3d7, v60 :: v_dual_lshlrev_b32 v2, 3, v2
	v_mul_u32_u24_e32 v4, 3, v217
	v_and_b32_e32 v58, 0xff, v57
	scratch_store_b32 off, v2, off offset:260 ; 4-byte Folded Spill
	ds_store_2addr_b64 v2, v[34:35], v[0:1] offset1:1
	ds_store_b64 v2, v[6:7] offset:16
	v_fma_f32 v0, -0.5, v61, v8
	v_fma_f32 v1, -0.5, v63, v9
	v_lshlrev_b32_e32 v4, 3, v4
	s_delay_alu instid0(VALU_DEP_3) | instskip(NEXT) | instid1(VALU_DEP_3)
	v_fmamk_f32 v2, v62, 0x3f5db3d7, v0
	v_dual_fmamk_f32 v3, v64, 0xbf5db3d7, v1 :: v_dual_fmac_f32 v0, 0xbf5db3d7, v62
	v_fmac_f32_e32 v1, 0x3f5db3d7, v64
	scratch_store_b32 off, v4, off offset:256 ; 4-byte Folded Spill
	ds_store_2addr_b64 v4, v[36:37], v[2:3] offset1:1
	ds_store_b64 v4, v[0:1] offset:16
	v_mul_u32_u24_e32 v2, 3, v229
	v_fmamk_f32 v0, v66, 0x3f5db3d7, v10
	v_fmamk_f32 v1, v68, 0xbf5db3d7, v11
	v_add_nc_u32_e32 v4, 0x2ee, v101
	v_fmac_f32_e32 v10, 0xbf5db3d7, v66
	v_dual_fmac_f32 v11, 0x3f5db3d7, v68 :: v_dual_lshlrev_b32 v2, 3, v2
	s_delay_alu instid0(VALU_DEP_3)
	v_mul_u32_u24_e32 v4, 3, v4
	scratch_store_b32 off, v2, off offset:264 ; 4-byte Folded Spill
	ds_store_2addr_b64 v2, v[38:39], v[0:1] offset1:1
	ds_store_b64 v2, v[10:11] offset:16
	v_fma_f32 v0, -0.5, v69, v12
	v_fma_f32 v1, -0.5, v71, v13
	v_lshlrev_b32_e32 v4, 3, v4
	s_delay_alu instid0(VALU_DEP_3) | instskip(NEXT) | instid1(VALU_DEP_3)
	v_fmamk_f32 v2, v70, 0x3f5db3d7, v0
	v_dual_fmamk_f32 v3, v72, 0xbf5db3d7, v1 :: v_dual_fmac_f32 v0, 0xbf5db3d7, v70
	v_fmac_f32_e32 v1, 0x3f5db3d7, v72
	scratch_store_b32 off, v4, off offset:268 ; 4-byte Folded Spill
	ds_store_2addr_b64 v4, v[40:41], v[2:3] offset1:1
	ds_store_b64 v4, v[0:1] offset:16
	v_add_nc_u32_e32 v2, 0x36b, v101
	v_fmamk_f32 v0, v74, 0x3f5db3d7, v14
	v_fmamk_f32 v1, v76, 0xbf5db3d7, v15
	v_add_nc_u32_e32 v4, 0x3e8, v101
	v_fmac_f32_e32 v14, 0xbf5db3d7, v74
	v_mul_u32_u24_e32 v2, 3, v2
	v_fmac_f32_e32 v15, 0x3f5db3d7, v76
	s_delay_alu instid0(VALU_DEP_4) | instskip(NEXT) | instid1(VALU_DEP_3)
	v_mul_u32_u24_e32 v4, 3, v4
	v_lshlrev_b32_e32 v2, 3, v2
	s_delay_alu instid0(VALU_DEP_2)
	v_lshlrev_b32_e32 v4, 3, v4
	scratch_store_b32 off, v2, off offset:272 ; 4-byte Folded Spill
	ds_store_2addr_b64 v2, v[42:43], v[0:1] offset1:1
	ds_store_b64 v2, v[14:15] offset:16
	v_fma_f32 v0, -0.5, v77, v16
	v_fma_f32 v1, -0.5, v80, v17
	scratch_store_b32 off, v4, off offset:276 ; 4-byte Folded Spill
	v_fmamk_f32 v2, v78, 0x3f5db3d7, v0
	v_dual_fmamk_f32 v3, v81, 0xbf5db3d7, v1 :: v_dual_fmac_f32 v0, 0xbf5db3d7, v78
	v_fmac_f32_e32 v1, 0x3f5db3d7, v81
	ds_store_2addr_b64 v4, v[20:21], v[2:3] offset1:1
	ds_store_b64 v4, v[0:1] offset:16
	v_add_nc_u32_e32 v2, 0x465, v101
	v_fmamk_f32 v0, v84, 0x3f5db3d7, v18
	v_fmamk_f32 v1, v87, 0xbf5db3d7, v19
	v_and_b32_e32 v20, 0xff, v171
	v_fmac_f32_e32 v18, 0xbf5db3d7, v84
	v_mul_u32_u24_e32 v2, 3, v2
	s_delay_alu instid0(VALU_DEP_1)
	v_dual_fmac_f32 v19, 0x3f5db3d7, v87 :: v_dual_lshlrev_b32 v2, 3, v2
	scratch_store_b32 off, v2, off offset:280 ; 4-byte Folded Spill
	ds_store_2addr_b64 v2, v[22:23], v[0:1] offset1:1
	ds_store_b64 v2, v[18:19] offset:16
	v_mul_lo_u16 v0, 0xab, v20
	v_mul_lo_u16 v1, 0xab, v58
	s_waitcnt lgkmcnt(0)
	s_waitcnt_vscnt null, 0x0
	s_barrier
	buffer_gl0_inv
	v_lshrrev_b16 v0, 9, v0
	v_lshrrev_b16 v21, 9, v1
	s_delay_alu instid0(VALU_DEP_2) | instskip(NEXT) | instid1(VALU_DEP_2)
	v_mul_lo_u16 v1, v0, 3
	v_mul_lo_u16 v2, v21, 3
	v_and_b32_e32 v0, 0xffff, v0
	s_delay_alu instid0(VALU_DEP_3) | instskip(NEXT) | instid1(VALU_DEP_3)
	v_sub_nc_u16 v1, v171, v1
	v_sub_nc_u16 v2, v57, v2
	s_delay_alu instid0(VALU_DEP_3) | instskip(NEXT) | instid1(VALU_DEP_3)
	v_mul_u32_u24_e32 v0, 15, v0
	v_and_b32_e32 v1, 0xff, v1
	s_delay_alu instid0(VALU_DEP_3) | instskip(NEXT) | instid1(VALU_DEP_2)
	v_and_b32_e32 v22, 0xff, v2
	v_lshlrev_b32_e32 v2, 5, v1
	s_delay_alu instid0(VALU_DEP_2)
	v_lshlrev_b32_e32 v3, 5, v22
	s_clause 0x1
	global_load_b128 v[211:214], v2, s[10:11]
	global_load_b128 v[16:19], v2, s[10:11] offset:16
	ds_load_2addr_b64 v[5:8], v90 offset0:110 offset1:235
	s_clause 0x1
	global_load_b128 v[196:199], v3, s[10:11]
	global_load_b128 v[12:15], v3, s[10:11] offset:16
	v_add_lshl_u32 v117, v0, v1, 3
	s_waitcnt vmcnt(3) lgkmcnt(0)
	v_mul_f32_e32 v2, v6, v212
	s_waitcnt vmcnt(2)
	scratch_store_b128 off, v[16:19], off offset:564 ; 16-byte Folded Spill
	s_waitcnt vmcnt(1)
	v_mul_f32_e32 v3, v8, v197
	s_waitcnt vmcnt(0)
	scratch_store_b128 off, v[12:15], off offset:468 ; 16-byte Folded Spill
	v_mul_f32_e32 v23, v7, v197
	v_fma_f32 v4, v5, v211, -v2
	v_mul_f32_e32 v2, v5, v212
	v_fma_f32 v27, v7, v196, -v3
	s_delay_alu instid0(VALU_DEP_4) | instskip(SKIP_4) | instid1(VALU_DEP_2)
	v_dual_mov_b32 v128, v90 :: v_dual_fmac_f32 v23, v8, v196
	ds_load_2addr_b64 v[7:10], v91 offset0:92 offset1:217
	s_waitcnt lgkmcnt(0)
	v_dual_fmac_f32 v2, v6, v211 :: v_dual_mul_f32 v3, v8, v214
	v_dual_mul_f32 v5, v7, v214 :: v_dual_mul_f32 v28, v9, v199
	v_fma_f32 v6, v7, v213, -v3
	v_mul_f32_e32 v3, v10, v199
	s_delay_alu instid0(VALU_DEP_3) | instskip(NEXT) | instid1(VALU_DEP_3)
	v_dual_fmac_f32 v5, v8, v213 :: v_dual_fmac_f32 v28, v10, v198
	v_sub_f32_e32 v0, v4, v6
	s_delay_alu instid0(VALU_DEP_3) | instskip(SKIP_4) | instid1(VALU_DEP_2)
	v_fma_f32 v29, v9, v198, -v3
	ds_load_2addr_b64 v[7:10], v88 offset0:74 offset1:199
	s_waitcnt lgkmcnt(0)
	v_mul_f32_e32 v3, v8, v17
	v_mul_f32_e32 v30, v9, v13
	v_fma_f32 v33, v7, v16, -v3
	v_mul_f32_e32 v7, v7, v17
	v_mul_f32_e32 v3, v10, v13
	s_delay_alu instid0(VALU_DEP_4) | instskip(NEXT) | instid1(VALU_DEP_3)
	v_fmac_f32_e32 v30, v10, v12
	v_dual_sub_f32 v100, v6, v33 :: v_dual_fmac_f32 v7, v8, v16
	s_delay_alu instid0(VALU_DEP_3)
	v_fma_f32 v31, v9, v12, -v3
	ds_load_2addr_b64 v[8:11], v89 offset0:56 offset1:181
	v_sub_f32_e32 v87, v5, v7
	s_waitcnt lgkmcnt(0)
	v_mul_f32_e32 v3, v9, v19
	v_mul_f32_e32 v34, v8, v19
	s_delay_alu instid0(VALU_DEP_2) | instskip(NEXT) | instid1(VALU_DEP_2)
	v_fma_f32 v35, v8, v18, -v3
	v_dual_mul_f32 v3, v11, v15 :: v_dual_fmac_f32 v34, v9, v18
	s_delay_alu instid0(VALU_DEP_2) | instskip(NEXT) | instid1(VALU_DEP_2)
	v_sub_f32_e32 v1, v35, v33
	v_fma_f32 v32, v10, v14, -v3
	v_mul_f32_e32 v3, v10, v15
	s_delay_alu instid0(VALU_DEP_4) | instskip(NEXT) | instid1(VALU_DEP_4)
	v_dual_sub_f32 v85, v2, v34 :: v_dual_sub_f32 v86, v4, v35
	v_add_f32_e32 v15, v0, v1
	s_delay_alu instid0(VALU_DEP_3) | instskip(SKIP_4) | instid1(VALU_DEP_2)
	v_dual_add_f32 v0, v6, v33 :: v_dual_fmac_f32 v3, v11, v14
	ds_load_2addr_b64 v[9:12], v209 offset1:125
	v_add_f32_e32 v1, v5, v7
	s_waitcnt lgkmcnt(0)
	v_fma_f32 v13, -0.5, v0, v9
	v_fma_f32 v14, -0.5, v1, v10
	v_sub_f32_e32 v0, v2, v5
	s_delay_alu instid0(VALU_DEP_3) | instskip(SKIP_1) | instid1(VALU_DEP_4)
	v_dual_sub_f32 v1, v34, v7 :: v_dual_fmamk_f32 v78, v85, 0x3f737871, v13
	v_fmac_f32_e32 v13, 0xbf737871, v85
	v_fmamk_f32 v79, v86, 0xbf737871, v14
	v_fmac_f32_e32 v14, 0x3f737871, v86
	s_delay_alu instid0(VALU_DEP_3) | instskip(NEXT) | instid1(VALU_DEP_3)
	v_fmac_f32_e32 v13, 0xbf167918, v87
	v_fmac_f32_e32 v79, 0xbf167918, v100
	s_delay_alu instid0(VALU_DEP_3) | instskip(NEXT) | instid1(VALU_DEP_3)
	v_fmac_f32_e32 v14, 0x3f167918, v100
	v_dual_fmac_f32 v13, 0x3e9e377a, v15 :: v_dual_add_f32 v56, v0, v1
	v_dual_add_f32 v0, v9, v4 :: v_dual_add_f32 v1, v10, v2
	s_delay_alu instid0(VALU_DEP_1) | instskip(NEXT) | instid1(VALU_DEP_2)
	v_dual_fmac_f32 v79, 0x3e9e377a, v56 :: v_dual_add_f32 v0, v0, v6
	v_dual_add_f32 v1, v1, v5 :: v_dual_sub_f32 v6, v6, v4
	v_add_f32_e32 v4, v4, v35
	v_fmac_f32_e32 v14, 0x3e9e377a, v56
	s_delay_alu instid0(VALU_DEP_3) | instskip(SKIP_3) | instid1(VALU_DEP_4)
	v_dual_add_f32 v0, v0, v33 :: v_dual_add_f32 v1, v1, v7
	v_sub_f32_e32 v33, v33, v35
	v_sub_f32_e32 v7, v7, v34
	v_fma_f32 v4, -0.5, v4, v9
	v_add_f32_e32 v76, v0, v35
	v_mul_u32_u24_e32 v0, 0xaaab, v59
	v_add_f32_e32 v77, v1, v34
	v_sub_f32_e32 v35, v5, v2
	v_add_f32_e32 v2, v2, v34
	v_add_f32_e32 v33, v6, v33
	v_lshrrev_b32_e32 v80, 17, v0
	v_mul_u32_u24_e32 v0, 0xaaab, v24
	v_fmamk_f32 v6, v87, 0xbf737871, v4
	v_fma_f32 v5, -0.5, v2, v10
	v_add_f32_e32 v2, v35, v7
	v_mul_lo_u16 v1, v80, 3
	v_lshrrev_b32_e32 v81, 17, v0
	v_mul_u32_u24_e32 v0, 0xaaab, v25
	v_fmamk_f32 v7, v100, 0x3f737871, v5
	v_fmac_f32_e32 v5, 0xbf737871, v100
	v_sub_nc_u16 v82, v162, v1
	v_mul_lo_u16 v1, v81, 3
	v_lshrrev_b32_e32 v8, 17, v0
	v_mul_u32_u24_e32 v0, 0xaaab, v26
	v_fmac_f32_e32 v7, 0xbf167918, v86
	v_fmac_f32_e32 v5, 0x3f167918, v86
	v_sub_nc_u16 v83, v172, v1
	v_mul_lo_u16 v1, v8, 3
	v_lshrrev_b32_e32 v0, 17, v0
	s_delay_alu instid0(VALU_DEP_4) | instskip(SKIP_1) | instid1(VALU_DEP_4)
	v_dual_mov_b32 v160, v88 :: v_dual_fmac_f32 v5, 0x3e9e377a, v2
	v_lshlrev_b16 v16, 2, v82
	v_sub_nc_u16 v84, v217, v1
	s_delay_alu instid0(VALU_DEP_4)
	v_mul_lo_u16 v1, v0, 3
	v_fmac_f32_e32 v7, 0x3e9e377a, v2
	v_and_b32_e32 v2, 0xffff, v21
	v_lshlrev_b16 v17, 2, v83
	v_lshlrev_b16 v18, 2, v84
	v_sub_nc_u16 v1, v229, v1
	v_and_b32_e32 v16, 0xffff, v16
	v_mul_u32_u24_e32 v2, 15, v2
	v_and_b32_e32 v17, 0xffff, v17
	v_and_b32_e32 v18, 0xffff, v18
	v_lshlrev_b16 v19, 2, v1
	v_mov_b32_e32 v164, v91
	v_add_lshl_u32 v56, v2, v22, 3
	v_sub_f32_e32 v22, v27, v32
	v_lshlrev_b32_e32 v16, 3, v16
	v_and_b32_e32 v19, 0xffff, v19
	v_lshlrev_b32_e32 v17, 3, v17
	v_lshlrev_b32_e32 v18, 3, v18
	v_fmac_f32_e32 v4, 0x3f737871, v87
	s_delay_alu instid0(VALU_DEP_4)
	v_dual_fmac_f32 v6, 0x3f167918, v85 :: v_dual_lshlrev_b32 v19, 3, v19
	s_clause 0x7
	global_load_b128 v[124:127], v16, s[10:11]
	global_load_b128 v[112:115], v16, s[10:11] offset:16
	global_load_b128 v[120:123], v17, s[10:11]
	global_load_b128 v[108:111], v17, s[10:11] offset:16
	;; [unrolled: 2-line block ×4, first 2 shown]
	ds_load_2addr_b64 v[36:39], v210 offset0:122 offset1:247
	ds_load_2addr_b64 v[40:43], v103 offset0:104 offset1:229
	;; [unrolled: 1-line block ×10, first 2 shown]
	v_fmac_f32_e32 v4, 0xbf167918, v85
	v_fmac_f32_e32 v6, 0x3e9e377a, v33
	s_waitcnt vmcnt(0) lgkmcnt(0)
	s_waitcnt_vscnt null, 0x0
	s_barrier
	buffer_gl0_inv
	v_fmac_f32_e32 v4, 0x3e9e377a, v33
	v_add_f32_e32 v2, v29, v31
	v_add_f32_e32 v9, v11, v27
	ds_store_b64 v117, v[13:14] offset:96
	v_add_f32_e32 v10, v12, v23
	ds_store_2addr_b64 v117, v[6:7], v[4:5] offset0:6 offset1:9
	v_add_f32_e32 v5, v27, v32
	v_fma_f32 v4, -0.5, v2, v11
	v_sub_f32_e32 v2, v29, v27
	v_add_f32_e32 v6, v23, v3
	v_sub_f32_e32 v7, v30, v3
	v_fma_f32 v11, -0.5, v5, v11
	v_dual_sub_f32 v5, v31, v32 :: v_dual_sub_f32 v14, v28, v30
	v_sub_f32_e32 v21, v29, v31
	v_fmac_f32_e32 v78, 0x3f167918, v87
	v_mad_u16 v8, v8, 15, v84
	s_delay_alu instid0(VALU_DEP_4)
	v_dual_add_f32 v2, v2, v5 :: v_dual_add_f32 v5, v28, v30
	scratch_store_b32 off, v117, off offset:284 ; 4-byte Folded Spill
	v_fmac_f32_e32 v78, 0x3e9e377a, v15
	v_dual_sub_f32 v15, v23, v3 :: v_dual_and_b32 v8, 0xffff, v8
	v_fma_f32 v5, -0.5, v5, v12
	v_fmac_f32_e32 v12, -0.5, v6
	v_sub_f32_e32 v6, v28, v23
	ds_store_2addr_b64 v117, v[76:77], v[78:79] offset1:3
	v_lshlrev_b32_e32 v8, 3, v8
	v_mad_u16 v0, v0, 15, v1
	v_mov_b32_e32 v87, v128
	v_add_f32_e32 v13, v6, v7
	v_fmamk_f32 v6, v14, 0xbf737871, v11
	v_fmac_f32_e32 v11, 0x3f737871, v14
	v_fmamk_f32 v7, v21, 0x3f737871, v12
	v_fmac_f32_e32 v12, 0xbf737871, v21
	v_and_b32_e32 v0, 0xffff, v0
	v_fmac_f32_e32 v6, 0x3f167918, v15
	v_fmac_f32_e32 v11, 0xbf167918, v15
	;; [unrolled: 1-line block ×4, first 2 shown]
	v_lshlrev_b32_e32 v0, 3, v0
	v_fmac_f32_e32 v6, 0x3e9e377a, v2
	v_fmac_f32_e32 v11, 0x3e9e377a, v2
	v_fmac_f32_e32 v7, 0x3e9e377a, v13
	v_fmac_f32_e32 v12, 0x3e9e377a, v13
	ds_store_2addr_b64 v56, v[6:7], v[11:12] offset0:6 offset1:9
	v_dual_add_f32 v7, v10, v28 :: v_dual_add_f32 v6, v9, v29
	v_sub_f32_e32 v9, v23, v28
	s_delay_alu instid0(VALU_DEP_2) | instskip(NEXT) | instid1(VALU_DEP_1)
	v_add_f32_e32 v7, v7, v30
	v_add_f32_e32 v7, v7, v3
	v_sub_f32_e32 v3, v3, v30
	s_delay_alu instid0(VALU_DEP_1) | instskip(SKIP_2) | instid1(VALU_DEP_2)
	v_add_f32_e32 v9, v9, v3
	v_fmamk_f32 v3, v22, 0xbf737871, v5
	v_fmac_f32_e32 v5, 0x3f737871, v22
	v_fmac_f32_e32 v3, 0xbf167918, v21
	s_delay_alu instid0(VALU_DEP_2) | instskip(NEXT) | instid1(VALU_DEP_2)
	v_fmac_f32_e32 v5, 0x3f167918, v21
	v_fmac_f32_e32 v3, 0x3e9e377a, v9
	s_delay_alu instid0(VALU_DEP_2) | instskip(SKIP_4) | instid1(VALU_DEP_4)
	v_fmac_f32_e32 v5, 0x3e9e377a, v9
	v_mul_f32_e32 v2, v41, v125
	v_mul_f32_e32 v12, v40, v125
	;; [unrolled: 1-line block ×4, first 2 shown]
	v_fma_f32 v11, v40, v124, -v2
	v_mul_f32_e32 v2, v43, v121
	s_delay_alu instid0(VALU_DEP_4)
	v_fmac_f32_e32 v33, v43, v120
	v_fmac_f32_e32 v12, v41, v124
	;; [unrolled: 1-line block ×3, first 2 shown]
	v_mul_f32_e32 v41, v46, v123
	v_fma_f32 v13, v42, v120, -v2
	v_dual_mul_f32 v2, v45, v127 :: v_dual_mul_f32 v45, v50, v109
	v_mul_f32_e32 v43, v48, v113
	s_delay_alu instid0(VALU_DEP_4) | instskip(NEXT) | instid1(VALU_DEP_3)
	v_dual_fmac_f32 v41, v47, v122 :: v_dual_add_f32 v6, v6, v31
	v_fma_f32 v34, v44, v126, -v2
	s_delay_alu instid0(VALU_DEP_4) | instskip(NEXT) | instid1(VALU_DEP_4)
	v_fmac_f32_e32 v45, v51, v108
	v_dual_mul_f32 v2, v47, v123 :: v_dual_fmac_f32 v43, v49, v112
	s_delay_alu instid0(VALU_DEP_4) | instskip(NEXT) | instid1(VALU_DEP_2)
	v_dual_mul_f32 v47, v52, v115 :: v_dual_add_f32 v6, v6, v32
	v_fma_f32 v40, v46, v122, -v2
	v_dual_mul_f32 v2, v49, v113 :: v_dual_mul_f32 v49, v54, v111
	s_delay_alu instid0(VALU_DEP_3) | instskip(NEXT) | instid1(VALU_DEP_2)
	v_dual_fmac_f32 v47, v53, v114 :: v_dual_sub_f32 v22, v35, v43
	v_fma_f32 v42, v48, v112, -v2
	v_mul_f32_e32 v2, v51, v109
	s_delay_alu instid0(VALU_DEP_4) | instskip(SKIP_1) | instid1(VALU_DEP_4)
	v_dual_fmac_f32 v49, v55, v110 :: v_dual_sub_f32 v10, v32, v31
	v_mul_f32_e32 v31, v68, v93
	v_sub_f32_e32 v23, v34, v42
	s_delay_alu instid0(VALU_DEP_4) | instskip(SKIP_1) | instid1(VALU_DEP_4)
	v_fma_f32 v44, v50, v108, -v2
	v_mul_f32_e32 v2, v53, v115
	v_fmac_f32_e32 v31, v69, v92
	s_delay_alu instid0(VALU_DEP_2) | instskip(SKIP_1) | instid1(VALU_DEP_2)
	v_fma_f32 v46, v52, v114, -v2
	v_mul_f32_e32 v2, v55, v111
	v_sub_f32_e32 v21, v11, v46
	s_delay_alu instid0(VALU_DEP_2) | instskip(SKIP_1) | instid1(VALU_DEP_1)
	v_fma_f32 v48, v54, v110, -v2
	v_dual_sub_f32 v2, v27, v29 :: v_dual_mul_f32 v29, v66, v99
	v_add_f32_e32 v10, v2, v10
	v_fmamk_f32 v2, v15, 0x3f737871, v4
	v_fmac_f32_e32 v4, 0xbf737871, v15
	v_sub_f32_e32 v15, v12, v47
	v_fmac_f32_e32 v29, v67, v98
	s_delay_alu instid0(VALU_DEP_4) | instskip(NEXT) | instid1(VALU_DEP_4)
	v_fmac_f32_e32 v2, 0x3f167918, v14
	v_fmac_f32_e32 v4, 0xbf167918, v14
	s_delay_alu instid0(VALU_DEP_2) | instskip(NEXT) | instid1(VALU_DEP_2)
	v_fmac_f32_e32 v2, 0x3e9e377a, v10
	v_fmac_f32_e32 v4, 0x3e9e377a, v10
	ds_store_2addr_b64 v56, v[6:7], v[2:3] offset1:3
	v_sub_f32_e32 v2, v11, v34
	v_sub_f32_e32 v3, v46, v42
	ds_store_b64 v56, v[4:5] offset:96
	v_sub_f32_e32 v4, v12, v35
	v_sub_f32_e32 v5, v47, v43
	v_mad_u16 v6, v80, 15, v82
	v_add_f32_e32 v9, v2, v3
	v_dual_add_f32 v2, v34, v42 :: v_dual_add_f32 v3, v35, v43
	s_delay_alu instid0(VALU_DEP_4) | instskip(SKIP_1) | instid1(VALU_DEP_3)
	v_add_f32_e32 v10, v4, v5
	v_dual_add_f32 v4, v36, v11 :: v_dual_add_f32 v5, v37, v12
	v_fma_f32 v2, -0.5, v2, v36
	s_delay_alu instid0(VALU_DEP_4) | instskip(SKIP_1) | instid1(VALU_DEP_4)
	v_fma_f32 v3, -0.5, v3, v37
	v_and_b32_e32 v14, 0xffff, v6
	v_dual_add_f32 v4, v4, v34 :: v_dual_add_f32 v5, v5, v35
	s_delay_alu instid0(VALU_DEP_4) | instskip(NEXT) | instid1(VALU_DEP_4)
	v_fmamk_f32 v6, v15, 0x3f737871, v2
	v_fmamk_f32 v7, v21, 0xbf737871, v3
	s_delay_alu instid0(VALU_DEP_4) | instskip(NEXT) | instid1(VALU_DEP_4)
	v_lshlrev_b32_e32 v27, 3, v14
	v_dual_add_f32 v4, v4, v42 :: v_dual_add_f32 v5, v5, v43
	s_delay_alu instid0(VALU_DEP_4) | instskip(NEXT) | instid1(VALU_DEP_4)
	v_fmac_f32_e32 v6, 0x3f167918, v22
	v_fmac_f32_e32 v7, 0xbf167918, v23
	;; [unrolled: 1-line block ×3, first 2 shown]
	s_delay_alu instid0(VALU_DEP_4) | instskip(NEXT) | instid1(VALU_DEP_3)
	v_dual_add_f32 v4, v4, v46 :: v_dual_add_f32 v5, v5, v47
	v_dual_fmac_f32 v6, 0x3e9e377a, v9 :: v_dual_fmac_f32 v7, 0x3e9e377a, v10
	v_fmac_f32_e32 v3, 0x3f737871, v21
	s_delay_alu instid0(VALU_DEP_4)
	v_fmac_f32_e32 v2, 0xbf167918, v22
	scratch_store_b32 off, v56, off offset:288 ; 4-byte Folded Spill
	ds_store_2addr_b64 v27, v[4:5], v[6:7] offset1:3
	v_sub_f32_e32 v4, v34, v11
	v_sub_f32_e32 v5, v42, v46
	v_dual_add_f32 v6, v11, v46 :: v_dual_add_f32 v11, v12, v47
	v_sub_f32_e32 v7, v35, v12
	s_delay_alu instid0(VALU_DEP_3) | instskip(NEXT) | instid1(VALU_DEP_3)
	v_dual_fmac_f32 v3, 0x3f167918, v23 :: v_dual_add_f32 v14, v4, v5
	v_fma_f32 v4, -0.5, v6, v36
	v_mul_f32_e32 v36, v72, v95
	v_fma_f32 v5, -0.5, v11, v37
	s_delay_alu instid0(VALU_DEP_4) | instskip(NEXT) | instid1(VALU_DEP_4)
	v_dual_fmac_f32 v2, 0x3e9e377a, v9 :: v_dual_fmac_f32 v3, 0x3e9e377a, v10
	v_fmamk_f32 v6, v22, 0xbf737871, v4
	v_fmac_f32_e32 v4, 0x3f737871, v22
	v_fmac_f32_e32 v36, v73, v94
	v_sub_f32_e32 v9, v41, v45
	ds_store_b64 v27, v[2:3] offset:96
	v_fmac_f32_e32 v6, 0x3f167918, v15
	v_fmac_f32_e32 v4, 0xbf167918, v15
	v_add_f32_e32 v2, v40, v44
	v_add_f32_e32 v3, v13, v48
	v_sub_f32_e32 v10, v33, v49
	v_fmac_f32_e32 v6, 0x3e9e377a, v14
	v_fmac_f32_e32 v4, 0x3e9e377a, v14
	v_sub_f32_e32 v14, v40, v44
	v_sub_f32_e32 v12, v43, v47
	v_fma_f32 v2, -0.5, v2, v38
	v_dual_sub_f32 v15, v13, v48 :: v_dual_mul_f32 v34, v70, v89
	s_delay_alu instid0(VALU_DEP_3) | instskip(SKIP_3) | instid1(VALU_DEP_3)
	v_add_f32_e32 v11, v7, v12
	v_fmamk_f32 v7, v23, 0x3f737871, v5
	v_fmac_f32_e32 v5, 0xbf737871, v23
	v_mad_u16 v12, v81, 15, v83
	v_fmac_f32_e32 v7, 0xbf167918, v21
	s_delay_alu instid0(VALU_DEP_3) | instskip(NEXT) | instid1(VALU_DEP_2)
	v_fmac_f32_e32 v5, 0x3f167918, v21
	v_fmac_f32_e32 v7, 0x3e9e377a, v11
	s_delay_alu instid0(VALU_DEP_2)
	v_fmac_f32_e32 v5, 0x3e9e377a, v11
	v_sub_f32_e32 v11, v45, v49
	ds_store_2addr_b64 v27, v[6:7], v[4:5] offset0:6 offset1:9
	v_add_f32_e32 v6, v38, v13
	v_fma_f32 v38, -0.5, v3, v38
	v_sub_f32_e32 v3, v40, v13
	v_dual_sub_f32 v4, v44, v48 :: v_dual_add_f32 v7, v39, v33
	s_delay_alu instid0(VALU_DEP_1) | instskip(SKIP_1) | instid1(VALU_DEP_2)
	v_dual_add_f32 v5, v3, v4 :: v_dual_fmamk_f32 v4, v9, 0xbf737871, v38
	v_fmac_f32_e32 v38, 0x3f737871, v9
	v_dual_add_f32 v3, v41, v45 :: v_dual_fmac_f32 v4, 0x3f167918, v10
	s_delay_alu instid0(VALU_DEP_2) | instskip(NEXT) | instid1(VALU_DEP_2)
	v_fmac_f32_e32 v38, 0xbf167918, v10
	v_fma_f32 v3, -0.5, v3, v39
	s_delay_alu instid0(VALU_DEP_3) | instskip(NEXT) | instid1(VALU_DEP_3)
	v_fmac_f32_e32 v4, 0x3e9e377a, v5
	v_fmac_f32_e32 v38, 0x3e9e377a, v5
	v_add_f32_e32 v5, v33, v49
	s_delay_alu instid0(VALU_DEP_1) | instskip(SKIP_1) | instid1(VALU_DEP_1)
	v_fmac_f32_e32 v39, -0.5, v5
	v_sub_f32_e32 v5, v41, v33
	v_add_f32_e32 v11, v5, v11
	s_delay_alu instid0(VALU_DEP_3) | instskip(SKIP_1) | instid1(VALU_DEP_2)
	v_fmamk_f32 v5, v14, 0x3f737871, v39
	v_fmac_f32_e32 v39, 0xbf737871, v14
	v_fmac_f32_e32 v5, 0xbf167918, v15
	s_delay_alu instid0(VALU_DEP_2) | instskip(NEXT) | instid1(VALU_DEP_2)
	v_fmac_f32_e32 v39, 0x3f167918, v15
	v_fmac_f32_e32 v5, 0x3e9e377a, v11
	s_delay_alu instid0(VALU_DEP_2) | instskip(SKIP_1) | instid1(VALU_DEP_1)
	v_fmac_f32_e32 v39, 0x3e9e377a, v11
	v_and_b32_e32 v11, 0xffff, v12
	v_lshlrev_b32_e32 v11, 3, v11
	ds_store_2addr_b64 v11, v[4:5], v[38:39] offset0:6 offset1:9
	v_dual_mul_f32 v4, v61, v105 :: v_dual_mov_b32 v39, v11
	v_dual_mul_f32 v38, v74, v91 :: v_dual_add_f32 v5, v7, v41
	v_sub_f32_e32 v7, v33, v41
	s_delay_alu instid0(VALU_DEP_3) | instskip(SKIP_1) | instid1(VALU_DEP_4)
	v_fma_f32 v11, v60, v104, -v4
	v_mul_f32_e32 v4, v63, v97
	v_dual_fmac_f32 v38, v75, v90 :: v_dual_sub_f32 v33, v49, v45
	s_clause 0x1
	scratch_store_b32 off, v27, off offset:292
	scratch_store_b32 off, v39, off offset:300
	v_fma_f32 v21, v62, v96, -v4
	v_dual_mul_f32 v4, v65, v107 :: v_dual_add_f32 v33, v7, v33
	v_fmamk_f32 v7, v15, 0xbf737871, v3
	v_fmac_f32_e32 v3, 0x3f737871, v15
	v_mul_f32_e32 v27, v64, v107
	s_delay_alu instid0(VALU_DEP_4) | instskip(SKIP_1) | instid1(VALU_DEP_4)
	v_fma_f32 v23, v64, v106, -v4
	v_dual_mul_f32 v4, v67, v99 :: v_dual_add_f32 v5, v5, v45
	v_fmac_f32_e32 v3, 0x3f167918, v14
	s_delay_alu instid0(VALU_DEP_4) | instskip(SKIP_1) | instid1(VALU_DEP_4)
	v_fmac_f32_e32 v27, v65, v106
	v_fmac_f32_e32 v7, 0xbf167918, v14
	v_fma_f32 v28, v66, v98, -v4
	v_mul_f32_e32 v4, v69, v93
	v_dual_fmac_f32 v34, v71, v88 :: v_dual_fmac_f32 v3, 0x3e9e377a, v33
	v_add_f32_e32 v5, v5, v49
	v_fmac_f32_e32 v7, 0x3e9e377a, v33
	s_delay_alu instid0(VALU_DEP_4) | instskip(SKIP_2) | instid1(VALU_DEP_3)
	v_fma_f32 v30, v68, v92, -v4
	v_mul_f32_e32 v4, v71, v89
	v_sub_f32_e32 v14, v27, v31
	v_sub_f32_e32 v33, v23, v30
	s_delay_alu instid0(VALU_DEP_3) | instskip(SKIP_1) | instid1(VALU_DEP_1)
	v_fma_f32 v32, v70, v88, -v4
	v_mul_f32_e32 v4, v73, v95
	v_fma_f32 v35, v72, v94, -v4
	v_mul_f32_e32 v4, v75, v91
	s_delay_alu instid0(VALU_DEP_2) | instskip(NEXT) | instid1(VALU_DEP_2)
	v_sub_f32_e32 v15, v11, v35
	v_fma_f32 v37, v74, v90, -v4
	v_add_f32_e32 v4, v6, v40
	v_sub_f32_e32 v6, v13, v40
	v_sub_f32_e32 v13, v48, v44
	s_delay_alu instid0(VALU_DEP_1) | instskip(SKIP_2) | instid1(VALU_DEP_3)
	v_dual_add_f32 v4, v4, v44 :: v_dual_add_f32 v13, v6, v13
	v_fmamk_f32 v6, v10, 0x3f737871, v2
	v_fmac_f32_e32 v2, 0xbf737871, v10
	v_add_f32_e32 v4, v4, v48
	s_delay_alu instid0(VALU_DEP_3) | instskip(NEXT) | instid1(VALU_DEP_3)
	v_fmac_f32_e32 v6, 0x3f167918, v9
	v_fmac_f32_e32 v2, 0xbf167918, v9
	s_delay_alu instid0(VALU_DEP_2) | instskip(NEXT) | instid1(VALU_DEP_2)
	v_fmac_f32_e32 v6, 0x3e9e377a, v13
	v_fmac_f32_e32 v2, 0x3e9e377a, v13
	ds_store_2addr_b64 v39, v[4:5], v[6:7] offset1:3
	ds_store_b64 v39, v[2:3] offset:96
	v_sub_f32_e32 v2, v11, v23
	v_dual_sub_f32 v3, v35, v30 :: v_dual_add_f32 v4, v16, v11
	v_sub_f32_e32 v7, v36, v31
	v_mov_b32_e32 v39, v8
	s_delay_alu instid0(VALU_DEP_3) | instskip(SKIP_3) | instid1(VALU_DEP_3)
	v_add_f32_e32 v9, v2, v3
	v_add_f32_e32 v3, v27, v31
	;; [unrolled: 1-line block ×4, first 2 shown]
	v_fma_f32 v3, -0.5, v3, v17
	v_mul_f32_e32 v12, v60, v105
	s_delay_alu instid0(VALU_DEP_4) | instskip(NEXT) | instid1(VALU_DEP_4)
	v_fma_f32 v2, -0.5, v2, v16
	v_add_f32_e32 v4, v4, v30
	s_delay_alu instid0(VALU_DEP_3) | instskip(NEXT) | instid1(VALU_DEP_1)
	v_fmac_f32_e32 v12, v61, v104
	v_dual_add_f32 v4, v4, v35 :: v_dual_add_f32 v5, v17, v12
	v_sub_f32_e32 v6, v12, v27
	v_sub_f32_e32 v13, v12, v36
	s_delay_alu instid0(VALU_DEP_3) | instskip(NEXT) | instid1(VALU_DEP_3)
	v_add_f32_e32 v5, v5, v27
	v_add_f32_e32 v10, v6, v7
	s_delay_alu instid0(VALU_DEP_3) | instskip(SKIP_1) | instid1(VALU_DEP_4)
	v_fmamk_f32 v6, v13, 0x3f737871, v2
	v_dual_fmamk_f32 v7, v15, 0xbf737871, v3 :: v_dual_fmac_f32 v2, 0xbf737871, v13
	v_add_f32_e32 v5, v5, v31
	v_fmac_f32_e32 v3, 0x3f737871, v15
	s_delay_alu instid0(VALU_DEP_4) | instskip(NEXT) | instid1(VALU_DEP_4)
	v_fmac_f32_e32 v6, 0x3f167918, v14
	v_dual_fmac_f32 v7, 0xbf167918, v33 :: v_dual_fmac_f32 v2, 0xbf167918, v14
	s_delay_alu instid0(VALU_DEP_4) | instskip(NEXT) | instid1(VALU_DEP_4)
	v_add_f32_e32 v5, v5, v36
	v_fmac_f32_e32 v3, 0x3f167918, v33
	s_delay_alu instid0(VALU_DEP_3) | instskip(NEXT) | instid1(VALU_DEP_2)
	v_dual_fmac_f32 v6, 0x3e9e377a, v9 :: v_dual_fmac_f32 v7, 0x3e9e377a, v10
	v_dual_fmac_f32 v2, 0x3e9e377a, v9 :: v_dual_fmac_f32 v3, 0x3e9e377a, v10
	ds_store_2addr_b64 v8, v[4:5], v[6:7] offset1:3
	v_sub_f32_e32 v4, v23, v11
	v_sub_f32_e32 v5, v30, v35
	v_add_f32_e32 v6, v11, v35
	v_sub_f32_e32 v11, v31, v36
	ds_store_b64 v39, v[2:3] offset:96
	v_add_f32_e32 v2, v28, v32
	v_add_f32_e32 v7, v4, v5
	v_fma_f32 v4, -0.5, v6, v16
	v_add_f32_e32 v5, v12, v36
	v_add_f32_e32 v3, v21, v37
	v_fma_f32 v2, -0.5, v2, v18
	s_delay_alu instid0(VALU_DEP_4) | instskip(SKIP_2) | instid1(VALU_DEP_3)
	v_fmamk_f32 v6, v14, 0xbf737871, v4
	v_fmac_f32_e32 v4, 0x3f737871, v14
	v_fma_f32 v5, -0.5, v5, v17
	v_fmac_f32_e32 v6, 0x3f167918, v13
	s_delay_alu instid0(VALU_DEP_3) | instskip(NEXT) | instid1(VALU_DEP_2)
	v_fmac_f32_e32 v4, 0xbf167918, v13
	v_fmac_f32_e32 v6, 0x3e9e377a, v7
	s_delay_alu instid0(VALU_DEP_2) | instskip(SKIP_2) | instid1(VALU_DEP_2)
	v_fmac_f32_e32 v4, 0x3e9e377a, v7
	v_fmamk_f32 v7, v33, 0x3f737871, v5
	v_dual_fmac_f32 v5, 0xbf737871, v33 :: v_dual_sub_f32 v8, v27, v12
	v_dual_sub_f32 v12, v21, v37 :: v_dual_fmac_f32 v7, 0xbf167918, v15
	s_delay_alu instid0(VALU_DEP_2) | instskip(NEXT) | instid1(VALU_DEP_3)
	v_fmac_f32_e32 v5, 0x3f167918, v15
	v_add_f32_e32 v8, v8, v11
	v_sub_f32_e32 v11, v28, v32
	s_delay_alu instid0(VALU_DEP_2) | instskip(NEXT) | instid1(VALU_DEP_4)
	v_fmac_f32_e32 v7, 0x3e9e377a, v8
	v_fmac_f32_e32 v5, 0x3e9e377a, v8
	ds_store_2addr_b64 v39, v[6:7], v[4:5] offset0:6 offset1:9
	v_add_f32_e32 v6, v18, v21
	v_fma_f32 v18, -0.5, v3, v18
	v_sub_f32_e32 v3, v28, v21
	v_sub_f32_e32 v4, v32, v37
	v_dual_mul_f32 v22, v62, v97 :: v_dual_sub_f32 v7, v29, v34
	s_delay_alu instid0(VALU_DEP_2) | instskip(NEXT) | instid1(VALU_DEP_2)
	v_dual_sub_f32 v10, v34, v38 :: v_dual_add_f32 v5, v3, v4
	v_dual_fmac_f32 v22, v63, v96 :: v_dual_add_f32 v3, v29, v34
	s_delay_alu instid0(VALU_DEP_3) | instskip(SKIP_1) | instid1(VALU_DEP_3)
	v_fmamk_f32 v4, v7, 0xbf737871, v18
	v_fmac_f32_e32 v18, 0x3f737871, v7
	v_sub_f32_e32 v8, v22, v38
	s_delay_alu instid0(VALU_DEP_4) | instskip(NEXT) | instid1(VALU_DEP_2)
	v_fma_f32 v3, -0.5, v3, v19
	v_dual_add_f32 v9, v19, v22 :: v_dual_fmac_f32 v4, 0x3f167918, v8
	s_delay_alu instid0(VALU_DEP_1) | instskip(NEXT) | instid1(VALU_DEP_2)
	v_dual_fmac_f32 v18, 0xbf167918, v8 :: v_dual_add_f32 v1, v9, v29
	v_fmac_f32_e32 v4, 0x3e9e377a, v5
	s_delay_alu instid0(VALU_DEP_2) | instskip(NEXT) | instid1(VALU_DEP_3)
	v_dual_fmac_f32 v18, 0x3e9e377a, v5 :: v_dual_add_f32 v5, v22, v38
	v_add_f32_e32 v1, v1, v34
	s_delay_alu instid0(VALU_DEP_2) | instskip(SKIP_1) | instid1(VALU_DEP_1)
	v_fmac_f32_e32 v19, -0.5, v5
	v_sub_f32_e32 v5, v29, v22
	v_dual_add_f32 v10, v5, v10 :: v_dual_fmamk_f32 v5, v11, 0x3f737871, v19
	v_fmac_f32_e32 v19, 0xbf737871, v11
	v_sub_f32_e32 v9, v38, v34
	v_add_f32_e32 v1, v1, v38
	s_delay_alu instid0(VALU_DEP_4) | instskip(NEXT) | instid1(VALU_DEP_4)
	v_fmac_f32_e32 v5, 0xbf167918, v12
	v_fmac_f32_e32 v19, 0x3f167918, v12
	s_delay_alu instid0(VALU_DEP_2) | instskip(NEXT) | instid1(VALU_DEP_2)
	v_fmac_f32_e32 v5, 0x3e9e377a, v10
	v_dual_fmac_f32 v19, 0x3e9e377a, v10 :: v_dual_mov_b32 v10, v0
	scratch_store_b32 off, v39, off offset:304 ; 4-byte Folded Spill
	ds_store_2addr_b64 v0, v[4:5], v[18:19] offset0:6 offset1:9
	scratch_store_b32 off, v10, off offset:296 ; 4-byte Folded Spill
	v_add_f32_e32 v0, v6, v28
	v_dual_sub_f32 v4, v21, v28 :: v_dual_sub_f32 v5, v22, v29
	v_sub_f32_e32 v6, v37, v32
	s_delay_alu instid0(VALU_DEP_2) | instskip(NEXT) | instid1(VALU_DEP_2)
	v_dual_add_f32 v0, v0, v32 :: v_dual_add_f32 v9, v5, v9
	v_add_f32_e32 v6, v4, v6
	v_fmamk_f32 v4, v8, 0x3f737871, v2
	v_dual_fmamk_f32 v5, v12, 0xbf737871, v3 :: v_dual_fmac_f32 v2, 0xbf737871, v8
	s_delay_alu instid0(VALU_DEP_4) | instskip(NEXT) | instid1(VALU_DEP_3)
	v_dual_fmac_f32 v3, 0x3f737871, v12 :: v_dual_add_f32 v0, v0, v37
	v_fmac_f32_e32 v4, 0x3f167918, v7
	s_delay_alu instid0(VALU_DEP_3) | instskip(NEXT) | instid1(VALU_DEP_4)
	v_fmac_f32_e32 v5, 0xbf167918, v11
	v_fmac_f32_e32 v2, 0xbf167918, v7
	s_delay_alu instid0(VALU_DEP_4) | instskip(NEXT) | instid1(VALU_DEP_3)
	v_fmac_f32_e32 v3, 0x3f167918, v11
	v_dual_fmac_f32 v4, 0x3e9e377a, v6 :: v_dual_fmac_f32 v5, 0x3e9e377a, v9
	s_delay_alu instid0(VALU_DEP_2)
	v_dual_fmac_f32 v2, 0x3e9e377a, v6 :: v_dual_fmac_f32 v3, 0x3e9e377a, v9
	ds_store_2addr_b64 v10, v[0:1], v[4:5] offset1:3
	v_mul_lo_u16 v0, 0x89, v20
	ds_store_b64 v10, v[2:3] offset:96
	s_waitcnt lgkmcnt(0)
	s_waitcnt_vscnt null, 0x0
	s_barrier
	buffer_gl0_inv
	v_lshrrev_b16 v2, 11, v0
	v_mul_lo_u16 v0, 0x89, v58
	s_delay_alu instid0(VALU_DEP_2) | instskip(NEXT) | instid1(VALU_DEP_2)
	v_mul_lo_u16 v1, v2, 15
	v_lshrrev_b16 v0, 11, v0
	v_and_b32_e32 v2, 0xffff, v2
	s_delay_alu instid0(VALU_DEP_3) | instskip(NEXT) | instid1(VALU_DEP_3)
	v_sub_nc_u16 v1, v171, v1
	v_mul_lo_u16 v3, v0, 15
	s_delay_alu instid0(VALU_DEP_3) | instskip(SKIP_1) | instid1(VALU_DEP_3)
	v_mul_u32_u24_e32 v2, 0x4b, v2
	v_and_b32_e32 v0, 0xffff, v0
	v_sub_nc_u16 v4, v57, v3
	v_and_b32_e32 v3, 0xff, v1
	s_delay_alu instid0(VALU_DEP_3) | instskip(NEXT) | instid1(VALU_DEP_3)
	v_mul_u32_u24_e32 v0, 0x4b, v0
	v_and_b32_e32 v1, 0xff, v4
	s_delay_alu instid0(VALU_DEP_3)
	v_lshlrev_b32_e32 v4, 5, v3
	s_clause 0x1
	global_load_b128 v[15:18], v4, s[10:11] offset:96
	global_load_b128 v[20:23], v4, s[10:11] offset:112
	ds_load_2addr_b64 v[4:7], v128 offset0:110 offset1:235
	ds_load_2addr_b64 v[65:68], v209 offset1:125
	v_add_lshl_u32 v51, v2, v3, 3
	s_waitcnt vmcnt(1) lgkmcnt(1)
	v_mul_f32_e32 v8, v5, v16
	v_mul_f32_e32 v13, v4, v16
	scratch_store_b128 off, v[15:18], off offset:448 ; 16-byte Folded Spill
	s_waitcnt vmcnt(0)
	scratch_store_b128 off, v[20:23], off offset:412 ; 16-byte Folded Spill
	v_fma_f32 v14, v4, v15, -v8
	v_dual_fmac_f32 v13, v5, v15 :: v_dual_lshlrev_b32 v4, 5, v1
	s_clause 0x1
	global_load_b128 v[9:12], v4, s[10:11] offset:96
	global_load_b128 v[27:30], v4, s[10:11] offset:112
	s_waitcnt vmcnt(1)
	v_mul_f32_e32 v4, v7, v10
	scratch_store_b128 off, v[9:12], off offset:396 ; 16-byte Folded Spill
	s_waitcnt vmcnt(0)
	scratch_store_b128 off, v[27:30], off offset:380 ; 16-byte Folded Spill
	v_fma_f32 v5, v6, v9, -v4
	v_mul_f32_e32 v4, v6, v10
	s_delay_alu instid0(VALU_DEP_1) | instskip(SKIP_4) | instid1(VALU_DEP_2)
	v_fmac_f32_e32 v4, v7, v9
	ds_load_2addr_b64 v[6:9], v164 offset0:92 offset1:217
	s_waitcnt lgkmcnt(0)
	v_mul_f32_e32 v10, v7, v18
	v_mul_f32_e32 v15, v6, v18
	v_fma_f32 v60, v6, v17, -v10
	s_delay_alu instid0(VALU_DEP_2) | instskip(SKIP_2) | instid1(VALU_DEP_1)
	v_fmac_f32_e32 v15, v7, v17
	ds_load_2addr_b64 v[16:19], v160 offset0:74 offset1:199
	v_mul_f32_e32 v6, v9, v12
	v_fma_f32 v7, v8, v11, -v6
	v_mul_f32_e32 v6, v8, v12
	v_mul_u32_u24_e32 v12, 0x8889, v26
	s_delay_alu instid0(VALU_DEP_2) | instskip(SKIP_3) | instid1(VALU_DEP_2)
	v_fmac_f32_e32 v6, v9, v11
	s_waitcnt lgkmcnt(0)
	v_mul_f32_e32 v8, v17, v21
	v_mul_f32_e32 v61, v16, v21
	v_fma_f32 v62, v16, v20, -v8
	v_mul_f32_e32 v8, v19, v28
	s_delay_alu instid0(VALU_DEP_2) | instskip(NEXT) | instid1(VALU_DEP_2)
	v_dual_fmac_f32 v61, v17, v20 :: v_dual_add_f32 v2, v60, v62
	v_fma_f32 v11, v18, v27, -v8
	s_delay_alu instid0(VALU_DEP_2) | instskip(SKIP_1) | instid1(VALU_DEP_4)
	v_dual_mul_f32 v8, v18, v28 :: v_dual_add_f32 v3, v15, v61
	v_sub_f32_e32 v48, v15, v61
	v_fma_f32 v20, -0.5, v2, v65
	v_sub_f32_e32 v2, v14, v60
	s_delay_alu instid0(VALU_DEP_4)
	v_fmac_f32_e32 v8, v19, v27
	ds_load_2addr_b64 v[16:19], v161 offset0:56 offset1:181
	v_fma_f32 v21, -0.5, v3, v66
	v_sub_f32_e32 v49, v60, v62
	s_waitcnt lgkmcnt(0)
	v_mul_f32_e32 v9, v17, v23
	v_mul_f32_e32 v63, v16, v23
	s_delay_alu instid0(VALU_DEP_2) | instskip(NEXT) | instid1(VALU_DEP_2)
	v_fma_f32 v64, v16, v22, -v9
	v_fmac_f32_e32 v63, v17, v22
	v_mul_u32_u24_e32 v16, 0x8889, v59
	v_mul_f32_e32 v9, v19, v30
	s_delay_alu instid0(VALU_DEP_4) | instskip(SKIP_1) | instid1(VALU_DEP_4)
	v_sub_f32_e32 v3, v64, v62
	v_sub_f32_e32 v43, v14, v64
	v_lshrrev_b32_e32 v38, 19, v16
	s_delay_alu instid0(VALU_DEP_4) | instskip(SKIP_4) | instid1(VALU_DEP_4)
	v_fma_f32 v10, v18, v29, -v9
	v_mul_f32_e32 v9, v18, v30
	v_add_f32_e32 v36, v2, v3
	v_dual_sub_f32 v2, v13, v15 :: v_dual_sub_f32 v3, v63, v61
	v_fmamk_f32 v86, v43, 0xbf737871, v21
	v_dual_fmac_f32 v9, v19, v29 :: v_dual_sub_f32 v42, v13, v63
	v_fmac_f32_e32 v21, 0x3f737871, v43
	s_delay_alu instid0(VALU_DEP_4) | instskip(SKIP_1) | instid1(VALU_DEP_4)
	v_dual_add_f32 v37, v2, v3 :: v_dual_add_f32 v2, v65, v14
	v_add_f32_e32 v3, v66, v13
	v_fmamk_f32 v85, v42, 0x3f737871, v20
	v_fmac_f32_e32 v86, 0xbf167918, v49
	s_delay_alu instid0(VALU_DEP_4) | instskip(NEXT) | instid1(VALU_DEP_4)
	v_dual_fmac_f32 v21, 0x3f167918, v49 :: v_dual_add_f32 v2, v2, v60
	v_add_f32_e32 v3, v3, v15
	s_delay_alu instid0(VALU_DEP_4) | instskip(NEXT) | instid1(VALU_DEP_4)
	v_fmac_f32_e32 v85, 0x3f167918, v48
	v_fmac_f32_e32 v86, 0x3e9e377a, v37
	;; [unrolled: 1-line block ×3, first 2 shown]
	s_delay_alu instid0(VALU_DEP_4) | instskip(NEXT) | instid1(VALU_DEP_4)
	v_dual_add_f32 v2, v2, v62 :: v_dual_add_f32 v3, v3, v61
	v_fmac_f32_e32 v85, 0x3e9e377a, v36
	v_fmac_f32_e32 v21, 0x3e9e377a, v37
	s_delay_alu instid0(VALU_DEP_4) | instskip(NEXT) | instid1(VALU_DEP_4)
	v_fmac_f32_e32 v20, 0xbf167918, v48
	v_dual_add_f32 v22, v2, v64 :: v_dual_add_f32 v23, v3, v63
	v_mul_u32_u24_e32 v2, 0x8889, v24
	v_mul_u32_u24_e32 v3, 0x8889, v25
	s_delay_alu instid0(VALU_DEP_4) | instskip(NEXT) | instid1(VALU_DEP_3)
	v_fmac_f32_e32 v20, 0x3e9e377a, v36
	v_lshrrev_b32_e32 v39, 19, v2
	s_delay_alu instid0(VALU_DEP_3) | instskip(SKIP_2) | instid1(VALU_DEP_2)
	v_lshrrev_b32_e32 v56, 19, v3
	v_mul_lo_u16 v3, v38, 15
	v_lshrrev_b32_e32 v2, 19, v12
	v_sub_nc_u16 v40, v162, v3
	v_mul_lo_u16 v3, v39, 15
	s_delay_alu instid0(VALU_DEP_2) | instskip(NEXT) | instid1(VALU_DEP_2)
	v_lshlrev_b16 v16, 5, v40
	v_sub_nc_u16 v41, v172, v3
	v_mul_lo_u16 v3, v56, 15
	s_delay_alu instid0(VALU_DEP_3) | instskip(NEXT) | instid1(VALU_DEP_3)
	v_and_b32_e32 v16, 0xffff, v16
	v_lshlrev_b16 v17, 5, v41
	s_delay_alu instid0(VALU_DEP_3) | instskip(SKIP_1) | instid1(VALU_DEP_4)
	v_sub_nc_u16 v12, v217, v3
	v_mul_lo_u16 v3, v2, 15
	v_add_co_u32 v16, s2, s10, v16
	s_delay_alu instid0(VALU_DEP_4) | instskip(NEXT) | instid1(VALU_DEP_3)
	v_and_b32_e32 v18, 0xffff, v17
	v_sub_nc_u16 v3, v229, v3
	v_lshlrev_b16 v17, 5, v12
	s_delay_alu instid0(VALU_DEP_2) | instskip(NEXT) | instid1(VALU_DEP_2)
	v_mad_u16 v2, 0x4b, v2, v3
	v_and_b32_e32 v24, 0xffff, v17
	v_lshlrev_b16 v17, 5, v3
	s_delay_alu instid0(VALU_DEP_3) | instskip(NEXT) | instid1(VALU_DEP_2)
	v_and_b32_e32 v2, 0xffff, v2
	v_and_b32_e32 v26, 0xffff, v17
	v_add_co_ci_u32_e64 v17, null, s11, 0, s2
	v_add_co_u32 v18, s2, s10, v18
	s_delay_alu instid0(VALU_DEP_1) | instskip(SKIP_1) | instid1(VALU_DEP_1)
	v_add_co_ci_u32_e64 v19, null, s11, 0, s2
	v_add_co_u32 v24, s2, s10, v24
	v_add_co_ci_u32_e64 v25, null, s11, 0, s2
	v_add_co_u32 v26, s2, s10, v26
	s_delay_alu instid0(VALU_DEP_1)
	v_add_co_ci_u32_e64 v27, null, s11, 0, s2
	s_clause 0x7
	global_load_b128 v[156:159], v[16:17], off offset:96
	global_load_b128 v[148:151], v[16:17], off offset:112
	;; [unrolled: 1-line block ×8, first 2 shown]
	ds_load_2addr_b64 v[52:55], v210 offset0:122 offset1:247
	ds_load_2addr_b64 v[69:72], v103 offset0:104 offset1:229
	;; [unrolled: 1-line block ×10, first 2 shown]
	s_waitcnt vmcnt(0) lgkmcnt(0)
	s_waitcnt_vscnt null, 0x0
	s_barrier
	buffer_gl0_inv
	ds_store_2addr_b64 v51, v[22:23], v[85:86] offset1:15
	v_dual_sub_f32 v22, v60, v14 :: v_dual_sub_f32 v23, v62, v64
	v_add_f32_e32 v14, v14, v64
	ds_store_b64 v51, v[20:21] offset:480
	v_add_lshl_u32 v85, v0, v1, 3
	scratch_store_b32 off, v51, off offset:484 ; 4-byte Folded Spill
	v_add_f32_e32 v50, v22, v23
	v_add_f32_e32 v23, v13, v63
	v_fma_f32 v22, -0.5, v14, v65
	v_lshlrev_b32_e32 v2, 3, v2
	s_delay_alu instid0(VALU_DEP_3) | instskip(SKIP_3) | instid1(VALU_DEP_2)
	v_fma_f32 v23, -0.5, v23, v66
	v_mul_f32_e32 v0, v70, v157
	v_mul_f32_e32 v64, v77, v149
	;; [unrolled: 1-line block ×3, first 2 shown]
	v_fmac_f32_e32 v64, v78, v148
	s_delay_alu instid0(VALU_DEP_2) | instskip(SKIP_3) | instid1(VALU_DEP_3)
	v_fmac_f32_e32 v66, v82, v150
	v_dual_sub_f32 v14, v15, v13 :: v_dual_sub_f32 v15, v61, v63
	v_mul_f32_e32 v61, v82, v151
	v_fmamk_f32 v13, v48, 0xbf737871, v22
	v_add_f32_e32 v15, v14, v15
	s_delay_alu instid0(VALU_DEP_3)
	v_fma_f32 v65, v81, v150, -v61
	v_fmamk_f32 v14, v49, 0x3f737871, v23
	v_fmac_f32_e32 v23, 0xbf737871, v49
	v_mul_f32_e32 v49, v69, v157
	v_fmac_f32_e32 v13, 0x3f167918, v42
	v_mul_f32_e32 v61, v84, v147
	s_delay_alu instid0(VALU_DEP_4) | instskip(NEXT) | instid1(VALU_DEP_4)
	v_fmac_f32_e32 v23, 0x3f167918, v43
	v_fmac_f32_e32 v49, v70, v156
	;; [unrolled: 1-line block ×6, first 2 shown]
	v_sub_f32_e32 v43, v5, v10
	v_fmac_f32_e32 v22, 0xbf167918, v42
	v_fmac_f32_e32 v14, 0x3e9e377a, v15
	v_sub_f32_e32 v36, v4, v9
	v_add_f32_e32 v37, v68, v4
	s_delay_alu instid0(VALU_DEP_4)
	v_dual_sub_f32 v15, v8, v9 :: v_dual_fmac_f32 v22, 0x3e9e377a, v50
	v_sub_f32_e32 v42, v7, v11
	v_fma_f32 v48, v69, v156, -v0
	v_mul_f32_e32 v0, v72, v153
	v_fma_f32 v62, v83, v146, -v61
	ds_store_2addr_b64 v51, v[13:14], v[22:23] offset0:30 offset1:45
	v_dual_add_f32 v13, v7, v11 :: v_dual_add_f32 v14, v5, v10
	v_dual_add_f32 v22, v67, v5 :: v_dual_sub_f32 v23, v6, v8
	v_fma_f32 v1, v71, v152, -v0
	s_delay_alu instid0(VALU_DEP_3) | instskip(NEXT) | instid1(VALU_DEP_4)
	v_fma_f32 v20, -0.5, v13, v67
	v_fma_f32 v67, -0.5, v14, v67
	v_sub_f32_e32 v13, v7, v5
	v_sub_f32_e32 v14, v11, v10
	v_mul_f32_e32 v0, v71, v153
	v_mul_f32_e32 v61, v83, v147
	v_add_f32_e32 v22, v22, v7
	v_sub_f32_e32 v5, v5, v7
	v_dual_add_f32 v14, v13, v14 :: v_dual_fmamk_f32 v13, v23, 0xbf737871, v67
	v_dual_fmac_f32 v67, 0x3f737871, v23 :: v_dual_fmac_f32 v0, v72, v152
	s_delay_alu instid0(VALU_DEP_4) | instskip(NEXT) | instid1(VALU_DEP_3)
	v_dual_fmac_f32 v61, v84, v146 :: v_dual_add_f32 v22, v22, v11
	v_fmac_f32_e32 v13, 0x3f167918, v36
	s_delay_alu instid0(VALU_DEP_3) | instskip(SKIP_2) | instid1(VALU_DEP_4)
	v_fmac_f32_e32 v67, 0xbf167918, v36
	v_mul_f32_e32 v51, v73, v159
	v_mov_b32_e32 v69, v103
	v_fmac_f32_e32 v13, 0x3e9e377a, v14
	s_delay_alu instid0(VALU_DEP_4) | instskip(NEXT) | instid1(VALU_DEP_4)
	v_dual_fmac_f32 v67, 0x3e9e377a, v14 :: v_dual_add_f32 v14, v6, v8
	v_fmac_f32_e32 v51, v74, v158
	s_delay_alu instid0(VALU_DEP_2) | instskip(SKIP_2) | instid1(VALU_DEP_2)
	v_fma_f32 v21, -0.5, v14, v68
	v_add_f32_e32 v14, v4, v9
	v_mov_b32_e32 v206, v102
	v_fmac_f32_e32 v68, -0.5, v14
	v_sub_f32_e32 v14, v6, v4
	s_delay_alu instid0(VALU_DEP_1) | instskip(NEXT) | instid1(VALU_DEP_3)
	v_add_f32_e32 v15, v14, v15
	v_fmamk_f32 v14, v42, 0x3f737871, v68
	v_fmac_f32_e32 v68, 0xbf737871, v42
	s_delay_alu instid0(VALU_DEP_2) | instskip(NEXT) | instid1(VALU_DEP_2)
	v_fmac_f32_e32 v14, 0xbf167918, v43
	v_fmac_f32_e32 v68, 0x3f167918, v43
	s_delay_alu instid0(VALU_DEP_2) | instskip(NEXT) | instid1(VALU_DEP_2)
	v_fmac_f32_e32 v14, 0x3e9e377a, v15
	v_dual_fmac_f32 v68, 0x3e9e377a, v15 :: v_dual_mul_f32 v15, v78, v149
	ds_store_2addr_b64 v85, v[13:14], v[67:68] offset0:30 offset1:45
	v_mul_f32_e32 v13, v74, v159
	v_fma_f32 v63, v77, v148, -v15
	v_mul_f32_e32 v15, v80, v145
	v_dual_mov_b32 v77, v161 :: v_dual_mov_b32 v74, v160
	s_delay_alu instid0(VALU_DEP_4) | instskip(SKIP_1) | instid1(VALU_DEP_4)
	v_fma_f32 v50, v73, v158, -v13
	v_mul_f32_e32 v13, v76, v155
	v_fma_f32 v60, v79, v144, -v15
	v_mul_f32_e32 v15, v79, v145
	v_mov_b32_e32 v73, v119
	v_mov_b32_e32 v79, v201
	v_fma_f32 v14, v75, v154, -v13
	v_mul_f32_e32 v13, v75, v155
	v_fmac_f32_e32 v15, v80, v144
	v_mov_b32_e32 v80, v116
	s_delay_alu instid0(VALU_DEP_3) | instskip(SKIP_3) | instid1(VALU_DEP_3)
	v_fmac_f32_e32 v13, v76, v154
	v_add_f32_e32 v7, v37, v6
	v_dual_sub_f32 v37, v10, v11 :: v_dual_sub_f32 v4, v4, v6
	v_sub_f32_e32 v6, v9, v8
	v_dual_add_f32 v10, v22, v10 :: v_dual_add_f32 v7, v7, v8
	v_sub_f32_e32 v8, v49, v51
	v_sub_f32_e32 v22, v51, v64
	s_delay_alu instid0(VALU_DEP_4) | instskip(NEXT) | instid1(VALU_DEP_4)
	v_add_f32_e32 v6, v4, v6
	v_dual_fmamk_f32 v4, v36, 0x3f737871, v20 :: v_dual_add_f32 v11, v7, v9
	v_add_f32_e32 v7, v5, v37
	v_dual_fmamk_f32 v5, v43, 0xbf737871, v21 :: v_dual_fmac_f32 v20, 0xbf737871, v36
	s_delay_alu instid0(VALU_DEP_3) | instskip(SKIP_2) | instid1(VALU_DEP_4)
	v_fmac_f32_e32 v4, 0x3f167918, v23
	v_fmac_f32_e32 v21, 0x3f737871, v43
	v_sub_f32_e32 v9, v66, v64
	v_dual_fmac_f32 v5, 0xbf167918, v42 :: v_dual_fmac_f32 v20, 0xbf167918, v23
	s_delay_alu instid0(VALU_DEP_4) | instskip(NEXT) | instid1(VALU_DEP_4)
	v_fmac_f32_e32 v4, 0x3e9e377a, v7
	v_fmac_f32_e32 v21, 0x3f167918, v42
	v_sub_f32_e32 v23, v48, v65
	s_delay_alu instid0(VALU_DEP_4) | instskip(SKIP_1) | instid1(VALU_DEP_4)
	v_dual_fmac_f32 v5, 0x3e9e377a, v6 :: v_dual_fmac_f32 v20, 0x3e9e377a, v7
	v_add_f32_e32 v7, v51, v64
	v_dual_fmac_f32 v21, 0x3e9e377a, v6 :: v_dual_add_f32 v6, v50, v63
	ds_store_2addr_b64 v85, v[10:11], v[4:5] offset1:15
	v_dual_sub_f32 v4, v48, v50 :: v_dual_sub_f32 v5, v65, v63
	ds_store_b64 v85, v[20:21] offset:480
	v_fma_f32 v6, -0.5, v6, v52
	v_fma_f32 v7, -0.5, v7, v53
	v_dual_sub_f32 v21, v49, v66 :: v_dual_add_f32 v10, v4, v5
	v_dual_add_f32 v4, v52, v48 :: v_dual_add_f32 v5, v53, v49
	v_add_f32_e32 v11, v8, v9
	v_mad_u16 v20, 0x4b, v38, v40
	s_delay_alu instid0(VALU_DEP_4) | instskip(NEXT) | instid1(VALU_DEP_4)
	v_fmamk_f32 v8, v21, 0x3f737871, v6
	v_dual_add_f32 v4, v4, v50 :: v_dual_add_f32 v5, v5, v51
	v_dual_fmamk_f32 v9, v23, 0xbf737871, v7 :: v_dual_sub_f32 v36, v50, v63
	s_delay_alu instid0(VALU_DEP_3) | instskip(NEXT) | instid1(VALU_DEP_3)
	v_fmac_f32_e32 v8, 0x3f167918, v22
	v_dual_add_f32 v4, v4, v63 :: v_dual_add_f32 v5, v5, v64
	v_and_b32_e32 v20, 0xffff, v20
	s_delay_alu instid0(VALU_DEP_4) | instskip(NEXT) | instid1(VALU_DEP_4)
	v_fmac_f32_e32 v9, 0xbf167918, v36
	v_fmac_f32_e32 v8, 0x3e9e377a, v10
	s_delay_alu instid0(VALU_DEP_4) | instskip(NEXT) | instid1(VALU_DEP_3)
	v_dual_add_f32 v4, v4, v65 :: v_dual_add_f32 v5, v5, v66
	v_dual_fmac_f32 v9, 0x3e9e377a, v11 :: v_dual_lshlrev_b32 v20, 3, v20
	v_fmac_f32_e32 v7, 0x3f737871, v23
	v_fmac_f32_e32 v6, 0xbf737871, v21
	s_delay_alu instid0(VALU_DEP_3)
	v_mov_b32_e32 v38, v20
	ds_store_2addr_b64 v20, v[4:5], v[8:9] offset1:15
	v_dual_sub_f32 v4, v50, v48 :: v_dual_sub_f32 v5, v63, v65
	v_add_f32_e32 v8, v48, v65
	v_sub_f32_e32 v20, v51, v49
	v_fmac_f32_e32 v6, 0xbf167918, v22
	v_fmac_f32_e32 v7, 0x3f167918, v36
	v_add_f32_e32 v9, v4, v5
	v_fma_f32 v4, -0.5, v8, v52
	v_add_f32_e32 v5, v49, v66
	s_delay_alu instid0(VALU_DEP_4) | instskip(SKIP_1) | instid1(VALU_DEP_4)
	v_dual_fmac_f32 v6, 0x3e9e377a, v10 :: v_dual_fmac_f32 v7, 0x3e9e377a, v11
	v_sub_f32_e32 v10, v0, v61
	v_fmamk_f32 v8, v22, 0xbf737871, v4
	v_fmac_f32_e32 v4, 0x3f737871, v22
	v_fma_f32 v5, -0.5, v5, v53
	ds_store_b64 v38, v[6:7] offset:480
	v_sub_f32_e32 v6, v60, v62
	v_fmac_f32_e32 v8, 0x3f167918, v21
	v_fmac_f32_e32 v4, 0xbf167918, v21
	v_add_f32_e32 v7, v0, v61
	v_add_f32_e32 v11, v55, v0
	v_sub_f32_e32 v22, v14, v60
	v_fmac_f32_e32 v8, 0x3e9e377a, v9
	v_fmac_f32_e32 v4, 0x3e9e377a, v9
	v_fmamk_f32 v9, v36, 0x3f737871, v5
	v_fmac_f32_e32 v5, 0xbf737871, v36
	v_mad_u16 v21, 0x4b, v39, v41
	s_delay_alu instid0(VALU_DEP_3) | instskip(NEXT) | instid1(VALU_DEP_3)
	v_fmac_f32_e32 v9, 0xbf167918, v23
	v_fmac_f32_e32 v5, 0x3f167918, v23
	v_sub_f32_e32 v23, v1, v62
	v_dual_sub_f32 v37, v64, v66 :: v_dual_add_nc_u32 v64, 0x3000, v209
	s_delay_alu instid0(VALU_DEP_1) | instskip(SKIP_1) | instid1(VALU_DEP_2)
	v_add_f32_e32 v20, v20, v37
	v_mul_f32_e32 v37, v46, v137
	v_fmac_f32_e32 v9, 0x3e9e377a, v20
	v_fmac_f32_e32 v5, 0x3e9e377a, v20
	s_delay_alu instid0(VALU_DEP_3) | instskip(SKIP_4) | instid1(VALU_DEP_2)
	v_fmac_f32_e32 v37, v47, v136
	v_sub_f32_e32 v20, v15, v61
	ds_store_2addr_b64 v38, v[8:9], v[4:5] offset0:30 offset1:45
	v_dual_add_f32 v4, v14, v60 :: v_dual_add_f32 v5, v1, v62
	v_dual_add_f32 v8, v54, v1 :: v_dual_sub_f32 v9, v13, v15
	v_fma_f32 v4, -0.5, v4, v54
	s_delay_alu instid0(VALU_DEP_3) | instskip(SKIP_2) | instid1(VALU_DEP_2)
	v_fma_f32 v54, -0.5, v5, v54
	v_sub_f32_e32 v5, v14, v1
	v_sub_f32_e32 v1, v1, v14
	v_add_f32_e32 v5, v5, v6
	s_delay_alu instid0(VALU_DEP_4) | instskip(SKIP_1) | instid1(VALU_DEP_2)
	v_fmamk_f32 v6, v9, 0xbf737871, v54
	v_fmac_f32_e32 v54, 0x3f737871, v9
	v_fmac_f32_e32 v6, 0x3f167918, v10
	s_delay_alu instid0(VALU_DEP_2) | instskip(NEXT) | instid1(VALU_DEP_2)
	v_fmac_f32_e32 v54, 0xbf167918, v10
	v_fmac_f32_e32 v6, 0x3e9e377a, v5
	s_delay_alu instid0(VALU_DEP_2) | instskip(NEXT) | instid1(VALU_DEP_1)
	v_dual_fmac_f32 v54, 0x3e9e377a, v5 :: v_dual_add_f32 v5, v13, v15
	v_fma_f32 v5, -0.5, v5, v55
	v_fmac_f32_e32 v55, -0.5, v7
	v_sub_f32_e32 v7, v13, v0
	s_delay_alu instid0(VALU_DEP_1) | instskip(SKIP_1) | instid1(VALU_DEP_2)
	v_dual_add_f32 v20, v7, v20 :: v_dual_fmamk_f32 v7, v22, 0x3f737871, v55
	v_dual_fmac_f32 v55, 0xbf737871, v22 :: v_dual_sub_f32 v0, v0, v13
	v_fmac_f32_e32 v7, 0xbf167918, v23
	s_delay_alu instid0(VALU_DEP_2) | instskip(NEXT) | instid1(VALU_DEP_2)
	v_fmac_f32_e32 v55, 0x3f167918, v23
	v_fmac_f32_e32 v7, 0x3e9e377a, v20
	s_delay_alu instid0(VALU_DEP_2) | instskip(SKIP_2) | instid1(VALU_DEP_2)
	v_fmac_f32_e32 v55, 0x3e9e377a, v20
	v_and_b32_e32 v20, 0xffff, v21
	v_mul_f32_e32 v21, v44, v141
	v_lshlrev_b32_e32 v39, 3, v20
	s_delay_alu instid0(VALU_DEP_2)
	v_fmac_f32_e32 v21, v45, v140
	ds_store_2addr_b64 v39, v[6:7], v[54:55] offset0:30 offset1:45
	v_mul_f32_e32 v6, v45, v141
	v_mov_b32_e32 v54, v101
	s_clause 0x2
	scratch_store_b32 off, v85, off offset:516
	scratch_store_b32 off, v39, off offset:524
	;; [unrolled: 1-line block ×3, first 2 shown]
	v_fma_f32 v20, v44, v140, -v6
	scratch_store_b32 off, v54, off offset:240 ; 4-byte Folded Spill
	v_mul_f32_e32 v6, v47, v137
	v_add_f32_e32 v7, v11, v13
	v_sub_f32_e32 v11, v61, v15
	s_delay_alu instid0(VALU_DEP_3) | instskip(SKIP_1) | instid1(VALU_DEP_3)
	v_fma_f32 v36, v46, v136, -v6
	v_mul_f32_e32 v6, v33, v143
	v_dual_add_f32 v11, v0, v11 :: v_dual_fmamk_f32 v0, v10, 0x3f737871, v4
	v_dual_fmac_f32 v4, 0xbf737871, v10 :: v_dual_add_f32 v7, v7, v15
	s_delay_alu instid0(VALU_DEP_3) | instskip(SKIP_4) | instid1(VALU_DEP_4)
	v_fma_f32 v38, v32, v142, -v6
	v_mul_f32_e32 v32, v32, v143
	v_mul_f32_e32 v6, v35, v139
	v_fmac_f32_e32 v0, 0x3f167918, v9
	v_fmac_f32_e32 v4, 0xbf167918, v9
	v_dual_add_f32 v7, v7, v61 :: v_dual_fmac_f32 v32, v33, v142
	s_delay_alu instid0(VALU_DEP_4) | instskip(SKIP_3) | instid1(VALU_DEP_3)
	v_fma_f32 v33, v34, v138, -v6
	v_mul_f32_e32 v34, v34, v139
	v_mul_f32_e32 v6, v29, v133
	v_mad_u16 v10, 0x4b, v56, v12
	v_fmac_f32_e32 v34, v35, v138
	s_delay_alu instid0(VALU_DEP_3) | instskip(SKIP_3) | instid1(VALU_DEP_3)
	v_fma_f32 v35, v28, v132, -v6
	v_mul_f32_e32 v28, v28, v133
	v_mul_f32_e32 v6, v31, v129
	v_and_b32_e32 v10, 0xffff, v10
	v_fmac_f32_e32 v28, v29, v132
	s_delay_alu instid0(VALU_DEP_3) | instskip(SKIP_2) | instid1(VALU_DEP_4)
	v_fma_f32 v29, v30, v128, -v6
	v_mul_f32_e32 v30, v30, v129
	v_mul_f32_e32 v6, v25, v135
	v_sub_f32_e32 v12, v32, v28
	s_delay_alu instid0(VALU_DEP_3) | instskip(NEXT) | instid1(VALU_DEP_3)
	v_fmac_f32_e32 v30, v31, v128
	v_fma_f32 v31, v24, v134, -v6
	v_mul_f32_e32 v24, v24, v135
	v_mul_f32_e32 v6, v27, v131
	s_delay_alu instid0(VALU_DEP_2) | instskip(NEXT) | instid1(VALU_DEP_2)
	v_dual_sub_f32 v13, v20, v31 :: v_dual_fmac_f32 v24, v25, v134
	v_fma_f32 v25, v26, v130, -v6
	v_add_f32_e32 v6, v8, v14
	v_sub_f32_e32 v8, v62, v60
	s_delay_alu instid0(VALU_DEP_4) | instskip(SKIP_1) | instid1(VALU_DEP_4)
	v_dual_sub_f32 v14, v38, v35 :: v_dual_sub_f32 v15, v28, v24
	v_mul_f32_e32 v26, v26, v131
	v_add_f32_e32 v6, v6, v60
	s_delay_alu instid0(VALU_DEP_4) | instskip(NEXT) | instid1(VALU_DEP_2)
	v_dual_add_f32 v8, v1, v8 :: v_dual_fmamk_f32 v1, v23, 0xbf737871, v5
	v_dual_fmac_f32 v5, 0x3f737871, v23 :: v_dual_add_f32 v6, v6, v62
	s_delay_alu instid0(VALU_DEP_2) | instskip(NEXT) | instid1(VALU_DEP_3)
	v_fmac_f32_e32 v0, 0x3e9e377a, v8
	v_fmac_f32_e32 v1, 0xbf167918, v22
	s_delay_alu instid0(VALU_DEP_3) | instskip(SKIP_2) | instid1(VALU_DEP_4)
	v_fmac_f32_e32 v5, 0x3f167918, v22
	v_fmac_f32_e32 v4, 0x3e9e377a, v8
	v_lshlrev_b32_e32 v22, 3, v10
	v_dual_sub_f32 v10, v32, v21 :: v_dual_fmac_f32 v1, 0x3e9e377a, v11
	s_delay_alu instid0(VALU_DEP_4) | instskip(NEXT) | instid1(VALU_DEP_2)
	v_fmac_f32_e32 v5, 0x3e9e377a, v11
	v_dual_sub_f32 v11, v21, v24 :: v_dual_add_f32 v10, v10, v15
	ds_store_2addr_b64 v39, v[6:7], v[0:1] offset1:15
	ds_store_b64 v39, v[4:5] offset:480
	v_dual_sub_f32 v0, v20, v38 :: v_dual_sub_f32 v1, v31, v35
	v_dual_add_f32 v4, v38, v35 :: v_dual_add_f32 v5, v32, v28
	v_sub_f32_e32 v6, v21, v32
	v_sub_f32_e32 v7, v24, v28
	s_delay_alu instid0(VALU_DEP_4) | instskip(SKIP_3) | instid1(VALU_DEP_3)
	v_add_f32_e32 v8, v0, v1
	v_dual_add_f32 v0, v16, v20 :: v_dual_add_f32 v1, v17, v21
	v_fma_f32 v4, -0.5, v4, v16
	v_fma_f32 v5, -0.5, v5, v17
	v_dual_add_f32 v9, v6, v7 :: v_dual_add_f32 v0, v0, v38
	s_delay_alu instid0(VALU_DEP_3) | instskip(NEXT) | instid1(VALU_DEP_3)
	v_dual_add_f32 v1, v1, v32 :: v_dual_fmamk_f32 v6, v11, 0x3f737871, v4
	v_dual_fmamk_f32 v7, v13, 0xbf737871, v5 :: v_dual_fmac_f32 v4, 0xbf737871, v11
	s_delay_alu instid0(VALU_DEP_2) | instskip(NEXT) | instid1(VALU_DEP_3)
	v_dual_add_f32 v0, v0, v35 :: v_dual_add_f32 v1, v1, v28
	v_fmac_f32_e32 v6, 0x3f167918, v12
	s_delay_alu instid0(VALU_DEP_3) | instskip(NEXT) | instid1(VALU_DEP_3)
	v_fmac_f32_e32 v7, 0xbf167918, v14
	v_dual_fmac_f32 v5, 0x3f737871, v13 :: v_dual_add_f32 v0, v0, v31
	s_delay_alu instid0(VALU_DEP_4) | instskip(NEXT) | instid1(VALU_DEP_3)
	v_add_f32_e32 v1, v1, v24
	v_dual_fmac_f32 v6, 0x3e9e377a, v8 :: v_dual_fmac_f32 v7, 0x3e9e377a, v9
	v_fmac_f32_e32 v4, 0xbf167918, v12
	s_delay_alu instid0(VALU_DEP_4)
	v_fmac_f32_e32 v5, 0x3f167918, v14
	ds_store_2addr_b64 v22, v[0:1], v[6:7] offset1:15
	v_dual_sub_f32 v0, v38, v20 :: v_dual_sub_f32 v1, v35, v31
	v_add_f32_e32 v6, v20, v31
	v_dual_fmac_f32 v4, 0x3e9e377a, v8 :: v_dual_fmac_f32 v5, 0x3e9e377a, v9
	v_add_f32_e32 v9, v19, v37
	s_delay_alu instid0(VALU_DEP_4) | instskip(NEXT) | instid1(VALU_DEP_4)
	v_add_f32_e32 v7, v0, v1
	v_fma_f32 v0, -0.5, v6, v16
	v_add_f32_e32 v1, v21, v24
	ds_store_b64 v22, v[4:5] offset:480
	v_sub_f32_e32 v4, v29, v25
	v_fmamk_f32 v6, v12, 0xbf737871, v0
	v_fmac_f32_e32 v0, 0x3f737871, v12
	v_fma_f32 v1, -0.5, v1, v17
	v_sub_f32_e32 v12, v36, v25
	s_delay_alu instid0(VALU_DEP_4) | instskip(NEXT) | instid1(VALU_DEP_4)
	v_fmac_f32_e32 v6, 0x3f167918, v11
	v_dual_fmac_f32 v0, 0xbf167918, v11 :: v_dual_sub_f32 v11, v33, v29
	v_fmac_f32_e32 v26, v27, v130
	s_delay_alu instid0(VALU_DEP_3) | instskip(NEXT) | instid1(VALU_DEP_3)
	v_fmac_f32_e32 v6, 0x3e9e377a, v7
	v_fmac_f32_e32 v0, 0x3e9e377a, v7
	v_fmamk_f32 v7, v14, 0x3f737871, v1
	v_fmac_f32_e32 v1, 0xbf737871, v14
	v_sub_f32_e32 v8, v37, v26
	v_add_f32_e32 v5, v37, v26
	s_delay_alu instid0(VALU_DEP_4) | instskip(NEXT) | instid1(VALU_DEP_4)
	v_fmac_f32_e32 v7, 0xbf167918, v13
	v_fmac_f32_e32 v1, 0x3f167918, v13
	v_mov_b32_e32 v13, v2
	scratch_store_b32 off, v22, off offset:528 ; 4-byte Folded Spill
	v_fmac_f32_e32 v7, 0x3e9e377a, v10
	v_fmac_f32_e32 v1, 0x3e9e377a, v10
	scratch_store_b32 off, v13, off offset:520 ; 4-byte Folded Spill
	v_sub_f32_e32 v10, v30, v26
	ds_store_2addr_b64 v22, v[6:7], v[0:1] offset0:30 offset1:45
	v_add_f32_e32 v0, v33, v29
	v_dual_add_f32 v1, v36, v25 :: v_dual_add_f32 v6, v18, v36
	v_sub_f32_e32 v7, v34, v30
	s_delay_alu instid0(VALU_DEP_3) | instskip(NEXT) | instid1(VALU_DEP_3)
	v_fma_f32 v0, -0.5, v0, v18
	v_fma_f32 v18, -0.5, v1, v18
	v_sub_f32_e32 v1, v33, v36
	s_delay_alu instid0(VALU_DEP_1) | instskip(SKIP_1) | instid1(VALU_DEP_2)
	v_dual_add_f32 v1, v1, v4 :: v_dual_fmamk_f32 v4, v7, 0xbf737871, v18
	v_fmac_f32_e32 v18, 0x3f737871, v7
	v_fmac_f32_e32 v4, 0x3f167918, v8
	s_delay_alu instid0(VALU_DEP_2) | instskip(NEXT) | instid1(VALU_DEP_2)
	v_fmac_f32_e32 v18, 0xbf167918, v8
	v_fmac_f32_e32 v4, 0x3e9e377a, v1
	s_delay_alu instid0(VALU_DEP_2) | instskip(NEXT) | instid1(VALU_DEP_1)
	v_dual_fmac_f32 v18, 0x3e9e377a, v1 :: v_dual_add_f32 v1, v34, v30
	v_fma_f32 v1, -0.5, v1, v19
	v_fmac_f32_e32 v19, -0.5, v5
	v_sub_f32_e32 v5, v34, v37
	s_delay_alu instid0(VALU_DEP_1) | instskip(SKIP_1) | instid1(VALU_DEP_2)
	v_dual_add_f32 v10, v5, v10 :: v_dual_fmamk_f32 v5, v11, 0x3f737871, v19
	v_fmac_f32_e32 v19, 0xbf737871, v11
	v_fmac_f32_e32 v5, 0xbf167918, v12
	s_delay_alu instid0(VALU_DEP_2) | instskip(NEXT) | instid1(VALU_DEP_2)
	v_fmac_f32_e32 v19, 0x3f167918, v12
	v_fmac_f32_e32 v5, 0x3e9e377a, v10
	s_delay_alu instid0(VALU_DEP_2)
	v_fmac_f32_e32 v19, 0x3e9e377a, v10
	ds_store_2addr_b64 v2, v[4:5], v[18:19] offset0:30 offset1:45
	v_sub_f32_e32 v4, v36, v33
	v_sub_f32_e32 v5, v25, v29
	v_dual_add_f32 v2, v6, v33 :: v_dual_add_f32 v3, v9, v34
	v_sub_f32_e32 v6, v37, v34
	s_delay_alu instid0(VALU_DEP_3) | instskip(SKIP_4) | instid1(VALU_DEP_3)
	v_add_f32_e32 v10, v4, v5
	v_fmamk_f32 v5, v12, 0xbf737871, v1
	v_dual_fmac_f32 v1, 0x3f737871, v12 :: v_dual_fmamk_f32 v4, v8, 0x3f737871, v0
	v_fmac_f32_e32 v0, 0xbf737871, v8
	v_dual_add_f32 v2, v2, v29 :: v_dual_add_f32 v3, v3, v30
	v_fmac_f32_e32 v1, 0x3f167918, v11
	s_delay_alu instid0(VALU_DEP_3) | instskip(SKIP_1) | instid1(VALU_DEP_4)
	v_dual_sub_f32 v9, v26, v30 :: v_dual_fmac_f32 v0, 0xbf167918, v7
	v_fmac_f32_e32 v4, 0x3f167918, v7
	v_dual_fmac_f32 v5, 0xbf167918, v11 :: v_dual_add_f32 v2, v2, v25
	s_delay_alu instid0(VALU_DEP_3) | instskip(NEXT) | instid1(VALU_DEP_4)
	v_add_f32_e32 v6, v6, v9
	v_fmac_f32_e32 v0, 0x3e9e377a, v10
	v_add_f32_e32 v3, v3, v26
	v_fmac_f32_e32 v4, 0x3e9e377a, v10
	s_delay_alu instid0(VALU_DEP_4)
	v_fmac_f32_e32 v1, 0x3e9e377a, v6
	v_fmac_f32_e32 v5, 0x3e9e377a, v6
	ds_store_b64 v13, v[0:1] offset:480
	v_add_nc_u32_e32 v0, 0xffffffb5, v101
	ds_store_2addr_b64 v13, v[2:3], v[4:5] offset1:15
	s_waitcnt lgkmcnt(0)
	s_waitcnt_vscnt null, 0x0
	s_barrier
	buffer_gl0_inv
	v_cndmask_b32_e32 v183, v0, v101, vcc_lo
	s_delay_alu instid0(VALU_DEP_1) | instskip(SKIP_1) | instid1(VALU_DEP_2)
	v_mul_i32_i24_e32 v0, 0x48, v183
	v_mul_hi_i32_i24_e32 v1, 0x48, v183
	v_add_co_u32 v4, vcc_lo, s10, v0
	s_delay_alu instid0(VALU_DEP_2)
	v_add_co_ci_u32_e32 v5, vcc_lo, s11, v1, vcc_lo
	v_mul_lo_u16 v0, 0xdb, v58
	v_cmp_lt_u16_e64 vcc_lo, 0x4a, v171
	s_clause 0x1
	global_load_b128 v[20:23], v[4:5], off offset:576
	global_load_b128 v[8:11], v[4:5], off offset:592
	v_lshrrev_b16 v170, 14, v0
	s_delay_alu instid0(VALU_DEP_1) | instskip(NEXT) | instid1(VALU_DEP_1)
	v_mul_lo_u16 v0, 0x4b, v170
	v_sub_nc_u16 v0, v57, v0
	s_delay_alu instid0(VALU_DEP_1) | instskip(SKIP_4) | instid1(VALU_DEP_2)
	v_and_b32_e32 v56, 0xff, v0
	ds_load_2addr_b64 v[0:3], v87 offset0:110 offset1:235
	s_waitcnt vmcnt(1) lgkmcnt(0)
	v_mul_f32_e32 v6, v1, v23
	v_mul_f32_e32 v178, v0, v23
	v_fma_f32 v184, v0, v22, -v6
	v_mad_u64_u32 v[6:7], null, 0x48, v56, s[10:11]
	s_clause 0x1
	global_load_b64 v[253:254], v[4:5], off offset:640
	global_load_b128 v[12:15], v[6:7], off offset:576
	s_waitcnt vmcnt(0)
	v_dual_fmac_f32 v178, v1, v22 :: v_dual_mov_b32 v27, v15
	v_dual_mov_b32 v26, v14 :: v_dual_mov_b32 v25, v13
	v_mov_b32_e32 v24, v12
	v_mov_b32_e32 v12, v11
	;; [unrolled: 1-line block ×4, first 2 shown]
	v_dual_mov_b32 v9, v8 :: v_dual_mul_f32 v0, v3, v15
	v_mul_f32_e32 v176, v2, v15
	scratch_store_b128 off, v[9:12], off offset:500 ; 16-byte Folded Spill
	v_fma_f32 v177, v2, v14, -v0
	v_fmac_f32_e32 v176, v3, v14
	ds_load_2addr_b64 v[0:3], v164 offset0:92 offset1:217
	s_clause 0x3
	global_load_b128 v[245:248], v[6:7], off offset:592
	global_load_b128 v[235:238], v[6:7], off offset:608
	global_load_b128 v[241:244], v[4:5], off offset:608
	global_load_b128 v[223:226], v[4:5], off offset:624
	s_waitcnt lgkmcnt(0)
	v_mul_f32_e32 v8, v1, v12
	v_mul_f32_e32 v189, v0, v12
	s_delay_alu instid0(VALU_DEP_2) | instskip(SKIP_1) | instid1(VALU_DEP_2)
	v_fma_f32 v190, v0, v11, -v8
	s_waitcnt vmcnt(3)
	v_dual_fmac_f32 v189, v1, v11 :: v_dual_mul_f32 v0, v3, v248
	v_mul_f32_e32 v180, v2, v248
	s_delay_alu instid0(VALU_DEP_2) | instskip(NEXT) | instid1(VALU_DEP_2)
	v_fma_f32 v181, v2, v247, -v0
	v_fmac_f32_e32 v180, v3, v247
	ds_load_2addr_b64 v[0:3], v160 offset0:74 offset1:199
	s_waitcnt vmcnt(1) lgkmcnt(0)
	v_mul_f32_e32 v4, v1, v244
	v_mul_f32_e32 v191, v0, v244
	;; [unrolled: 1-line block ×3, first 2 shown]
	s_delay_alu instid0(VALU_DEP_3) | instskip(NEXT) | instid1(VALU_DEP_3)
	v_fma_f32 v193, v0, v243, -v4
	v_dual_mul_f32 v0, v3, v238 :: v_dual_fmac_f32 v191, v1, v243
	s_delay_alu instid0(VALU_DEP_3) | instskip(NEXT) | instid1(VALU_DEP_3)
	v_fmac_f32_e32 v185, v3, v237
	v_sub_f32_e32 v50, v190, v193
	v_mov_b32_e32 v76, v87
	s_delay_alu instid0(VALU_DEP_4)
	v_fma_f32 v186, v2, v237, -v0
	ds_load_2addr_b64 v[1:4], v161 offset0:56 offset1:181
	s_clause 0x1
	global_load_b64 v[227:228], v[6:7], off offset:640
	global_load_b128 v[84:87], v[6:7], off offset:624
	scratch_store_b128 off, v[24:27], off offset:532 ; 16-byte Folded Spill
	v_sub_f32_e32 v42, v189, v191
	v_mov_b32_e32 v68, v118
	s_waitcnt vmcnt(2) lgkmcnt(0)
	v_mul_f32_e32 v0, v2, v226
	v_mul_f32_e32 v192, v1, v226
	s_delay_alu instid0(VALU_DEP_2) | instskip(NEXT) | instid1(VALU_DEP_2)
	v_fma_f32 v194, v1, v225, -v0
	v_fmac_f32_e32 v192, v2, v225
	s_delay_alu instid0(VALU_DEP_2) | instskip(NEXT) | instid1(VALU_DEP_2)
	v_sub_f32_e32 v48, v184, v194
	v_sub_f32_e32 v40, v178, v192
	s_waitcnt vmcnt(0)
	v_mul_f32_e32 v0, v4, v87
	v_mul_f32_e32 v8, v3, v87
	s_delay_alu instid0(VALU_DEP_2) | instskip(SKIP_1) | instid1(VALU_DEP_3)
	v_fma_f32 v13, v3, v86, -v0
	v_mul_u32_u24_e32 v0, 0xb4e9, v59
	v_fmac_f32_e32 v8, v4, v86
	ds_load_2addr_b64 v[4:7], v119 offset0:116 offset1:241
	v_lshrrev_b32_e32 v0, 16, v0
	s_delay_alu instid0(VALU_DEP_1) | instskip(NEXT) | instid1(VALU_DEP_1)
	v_sub_nc_u16 v1, v162, v0
	v_lshrrev_b16 v1, 1, v1
	s_delay_alu instid0(VALU_DEP_1) | instskip(SKIP_3) | instid1(VALU_DEP_3)
	v_add_nc_u16 v0, v1, v0
	s_waitcnt lgkmcnt(0)
	v_mul_f32_e32 v1, v5, v25
	v_mul_f32_e32 v182, v4, v25
	v_lshrrev_b16 v161, 6, v0
	s_delay_alu instid0(VALU_DEP_3) | instskip(NEXT) | instid1(VALU_DEP_3)
	v_fma_f32 v179, v4, v24, -v1
	v_fmac_f32_e32 v182, v5, v24
	s_delay_alu instid0(VALU_DEP_3) | instskip(NEXT) | instid1(VALU_DEP_1)
	v_mul_lo_u16 v0, 0x4b, v161
	v_sub_nc_u16 v165, v162, v0
	s_delay_alu instid0(VALU_DEP_1) | instskip(NEXT) | instid1(VALU_DEP_1)
	v_mul_lo_u16 v0, 0x48, v165
	v_and_b32_e32 v0, 0xffff, v0
	s_delay_alu instid0(VALU_DEP_1) | instskip(NEXT) | instid1(VALU_DEP_1)
	v_add_co_u32 v0, s2, s10, v0
	v_add_co_ci_u32_e64 v1, null, s11, 0, s2
	s_clause 0x1
	global_load_b128 v[231:234], v[0:1], off offset:576
	global_load_b128 v[218:221], v[0:1], off offset:592
	s_waitcnt vmcnt(1)
	v_mul_f32_e32 v2, v7, v232
	v_mul_f32_e32 v33, v6, v232
	s_delay_alu instid0(VALU_DEP_2) | instskip(NEXT) | instid1(VALU_DEP_2)
	v_fma_f32 v32, v6, v231, -v2
	v_fmac_f32_e32 v33, v7, v231
	ds_load_2addr_b64 v[4:7], v103 offset0:104 offset1:229
	s_waitcnt lgkmcnt(0)
	v_mul_f32_e32 v2, v7, v10
	v_mul_f32_e32 v195, v6, v10
	;; [unrolled: 1-line block ×3, first 2 shown]
	s_delay_alu instid0(VALU_DEP_3) | instskip(NEXT) | instid1(VALU_DEP_3)
	v_fma_f32 v255, v6, v9, -v2
	v_dual_mul_f32 v2, v5, v234 :: v_dual_fmac_f32 v195, v7, v9
	s_delay_alu instid0(VALU_DEP_3) | instskip(NEXT) | instid1(VALU_DEP_2)
	v_fmac_f32_e32 v46, v5, v233
	v_fma_f32 v47, v4, v233, -v2
	ds_load_2addr_b64 v[4:7], v118 offset0:98 offset1:223
	s_waitcnt lgkmcnt(0)
	v_mul_f32_e32 v2, v5, v246
	s_waitcnt vmcnt(0)
	v_dual_mul_f32 v9, v4, v246 :: v_dual_mul_f32 v44, v6, v219
	s_delay_alu instid0(VALU_DEP_2) | instskip(NEXT) | instid1(VALU_DEP_2)
	v_fma_f32 v12, v4, v245, -v2
	v_dual_mul_f32 v2, v7, v219 :: v_dual_fmac_f32 v9, v5, v245
	s_delay_alu instid0(VALU_DEP_3) | instskip(NEXT) | instid1(VALU_DEP_2)
	v_fmac_f32_e32 v44, v7, v218
	v_fma_f32 v45, v6, v218, -v2
	ds_load_2addr_b64 v[4:7], v116 offset0:86 offset1:211
	s_waitcnt lgkmcnt(0)
	v_mul_f32_e32 v2, v7, v242
	v_dual_mul_f32 v11, v6, v242 :: v_dual_mul_f32 v160, v4, v221
	s_delay_alu instid0(VALU_DEP_2) | instskip(SKIP_1) | instid1(VALU_DEP_3)
	v_fma_f32 v15, v6, v241, -v2
	v_mul_f32_e32 v2, v5, v221
	v_dual_fmac_f32 v11, v7, v241 :: v_dual_fmac_f32 v160, v5, v220
	s_delay_alu instid0(VALU_DEP_2)
	v_fma_f32 v163, v4, v220, -v2
	ds_load_2addr_b64 v[4:7], v202 offset0:80 offset1:205
	s_clause 0x2
	global_load_b128 v[100:103], v[0:1], off offset:608
	global_load_b128 v[116:119], v[0:1], off offset:624
	global_load_b64 v[215:216], v[0:1], off offset:640
	ds_load_2addr_b64 v[28:31], v203 offset0:68 offset1:193
	v_sub_f32_e32 v1, v194, v193
	scratch_store_b128 off, v[20:23], off offset:548 ; 16-byte Folded Spill
	s_waitcnt lgkmcnt(1)
	v_mul_f32_e32 v2, v5, v236
	v_mul_f32_e32 v16, v4, v236
	s_delay_alu instid0(VALU_DEP_2) | instskip(SKIP_2) | instid1(VALU_DEP_3)
	v_fma_f32 v10, v4, v235, -v2
	s_waitcnt lgkmcnt(0)
	v_mul_f32_e32 v4, v30, v224
	v_fmac_f32_e32 v16, v5, v235
	s_delay_alu instid0(VALU_DEP_2) | instskip(SKIP_3) | instid1(VALU_DEP_2)
	v_fmac_f32_e32 v4, v31, v223
	s_waitcnt vmcnt(2)
	v_mul_f32_e32 v2, v7, v101
	v_dual_mul_f32 v58, v6, v101 :: v_dual_mul_f32 v167, v28, v103
	v_fma_f32 v59, v6, v100, -v2
	v_mul_f32_e32 v2, v31, v224
	s_delay_alu instid0(VALU_DEP_3) | instskip(NEXT) | instid1(VALU_DEP_2)
	v_dual_fmac_f32 v58, v7, v100 :: v_dual_fmac_f32 v167, v29, v102
	v_fma_f32 v7, v30, v223, -v2
	v_mul_f32_e32 v2, v29, v103
	s_delay_alu instid0(VALU_DEP_2) | instskip(NEXT) | instid1(VALU_DEP_2)
	v_sub_f32_e32 v27, v15, v7
	v_fma_f32 v168, v28, v102, -v2
	ds_load_2addr_b64 v[28:31], v200 offset0:62 offset1:187
	v_mov_b32_e32 v78, v164
	s_waitcnt lgkmcnt(0)
	v_mul_f32_e32 v2, v29, v85
	v_mul_f32_e32 v6, v28, v85
	s_waitcnt vmcnt(1)
	v_mul_f32_e32 v164, v30, v117
	s_delay_alu instid0(VALU_DEP_3) | instskip(NEXT) | instid1(VALU_DEP_3)
	v_fma_f32 v14, v28, v84, -v2
	v_fmac_f32_e32 v6, v29, v84
	v_mul_f32_e32 v2, v31, v117
	s_delay_alu instid0(VALU_DEP_4) | instskip(NEXT) | instid1(VALU_DEP_2)
	v_fmac_f32_e32 v164, v31, v116
	v_fma_f32 v166, v30, v116, -v2
	ds_load_2addr_b64 v[28:31], v206 offset0:50 offset1:175
	s_waitcnt lgkmcnt(0)
	v_mul_f32_e32 v2, v31, v254
	v_mul_f32_e32 v222, v30, v254
	;; [unrolled: 1-line block ×3, first 2 shown]
	s_delay_alu instid0(VALU_DEP_3) | instskip(SKIP_1) | instid1(VALU_DEP_4)
	v_fma_f32 v5, v30, v253, -v2
	v_mul_f32_e32 v2, v29, v119
	v_fmac_f32_e32 v222, v31, v253
	s_delay_alu instid0(VALU_DEP_4) | instskip(NEXT) | instid1(VALU_DEP_4)
	v_fmac_f32_e32 v174, v29, v118
	v_sub_f32_e32 v26, v255, v5
	s_delay_alu instid0(VALU_DEP_4)
	v_fma_f32 v175, v28, v118, -v2
	ds_load_2addr_b64 v[28:31], v201 offset0:44 offset1:169
	s_waitcnt lgkmcnt(0)
	v_mul_f32_e32 v0, v29, v228
	v_mul_f32_e32 v187, v28, v228
	s_waitcnt vmcnt(0)
	v_mul_f32_e32 v169, v30, v216
	s_delay_alu instid0(VALU_DEP_3) | instskip(NEXT) | instid1(VALU_DEP_3)
	v_fma_f32 v188, v28, v227, -v0
	v_dual_mul_f32 v0, v31, v216 :: v_dual_fmac_f32 v187, v29, v227
	s_delay_alu instid0(VALU_DEP_3) | instskip(NEXT) | instid1(VALU_DEP_2)
	v_fmac_f32_e32 v169, v31, v215
	v_fma_f32 v173, v30, v215, -v0
	v_sub_f32_e32 v0, v184, v190
	ds_load_2addr_b64 v[28:31], v210 offset0:122 offset1:247
	v_add_f32_e32 v35, v0, v1
	v_dual_sub_f32 v0, v178, v189 :: v_dual_sub_f32 v1, v192, v191
	s_delay_alu instid0(VALU_DEP_1) | instskip(SKIP_1) | instid1(VALU_DEP_1)
	v_dual_add_f32 v19, v0, v1 :: v_dual_sub_f32 v0, v255, v15
	v_sub_f32_e32 v1, v5, v7
	v_add_f32_e32 v34, v0, v1
	v_dual_sub_f32 v0, v195, v11 :: v_dual_sub_f32 v1, v222, v4
	s_waitcnt lgkmcnt(0)
	v_mul_f32_e32 v23, v30, v21
	s_delay_alu instid0(VALU_DEP_2) | instskip(SKIP_1) | instid1(VALU_DEP_3)
	v_add_f32_e32 v230, v0, v1
	v_mul_f32_e32 v0, v31, v21
	v_fmac_f32_e32 v23, v31, v20
	v_sub_f32_e32 v31, v11, v4
	v_add_f32_e32 v21, v189, v191
	s_delay_alu instid0(VALU_DEP_4) | instskip(SKIP_3) | instid1(VALU_DEP_4)
	v_fma_f32 v22, v30, v20, -v0
	v_add_f32_e32 v0, v15, v7
	v_sub_f32_e32 v30, v195, v222
	v_add_f32_e32 v20, v23, v195
	v_add_f32_e32 v18, v22, v255
	s_delay_alu instid0(VALU_DEP_4) | instskip(SKIP_1) | instid1(VALU_DEP_4)
	v_fma_f32 v24, -0.5, v0, v22
	v_add_f32_e32 v0, v11, v4
	v_add_f32_e32 v20, v20, v11
	s_delay_alu instid0(VALU_DEP_4) | instskip(NEXT) | instid1(VALU_DEP_4)
	v_add_f32_e32 v18, v18, v15
	v_fmamk_f32 v1, v30, 0x3f737871, v24
	s_delay_alu instid0(VALU_DEP_4) | instskip(NEXT) | instid1(VALU_DEP_4)
	v_fma_f32 v25, -0.5, v0, v23
	v_dual_add_f32 v20, v20, v4 :: v_dual_sub_f32 v15, v15, v255
	s_delay_alu instid0(VALU_DEP_4) | instskip(NEXT) | instid1(VALU_DEP_4)
	v_add_f32_e32 v18, v18, v7
	v_fmac_f32_e32 v1, 0x3f167918, v31
	s_delay_alu instid0(VALU_DEP_3) | instskip(SKIP_1) | instid1(VALU_DEP_3)
	v_dual_fmamk_f32 v0, v26, 0xbf737871, v25 :: v_dual_add_f32 v53, v20, v222
	v_sub_f32_e32 v4, v4, v222
	v_dual_add_f32 v52, v18, v5 :: v_dual_fmac_f32 v1, 0x3e9e377a, v34
	s_delay_alu instid0(VALU_DEP_3) | instskip(SKIP_2) | instid1(VALU_DEP_4)
	v_fmac_f32_e32 v0, 0xbf167918, v27
	v_fmac_f32_e32 v24, 0xbf737871, v30
	;; [unrolled: 1-line block ×3, first 2 shown]
	v_mul_f32_e32 v37, 0xbf167918, v1
	s_delay_alu instid0(VALU_DEP_4) | instskip(NEXT) | instid1(VALU_DEP_4)
	v_fmac_f32_e32 v0, 0x3e9e377a, v230
	v_fmac_f32_e32 v24, 0xbf167918, v31
	s_delay_alu instid0(VALU_DEP_2) | instskip(NEXT) | instid1(VALU_DEP_4)
	v_dual_fmac_f32 v25, 0x3f167918, v27 :: v_dual_mul_f32 v36, 0x3f167918, v0
	v_fmac_f32_e32 v37, 0x3f4f1bbd, v0
	v_cndmask_b32_e64 v0, 0, 0x2ee, vcc_lo
	s_delay_alu instid0(VALU_DEP_4) | instskip(NEXT) | instid1(VALU_DEP_4)
	v_fmac_f32_e32 v24, 0x3e9e377a, v34
	v_fmac_f32_e32 v25, 0x3e9e377a, v230
	;; [unrolled: 1-line block ×3, first 2 shown]
	s_delay_alu instid0(VALU_DEP_4)
	v_add_lshl_u32 v55, v183, v0, 3
	ds_load_2addr_b64 v[0:3], v209 offset1:125
	s_waitcnt lgkmcnt(0)
	s_waitcnt_vscnt null, 0x0
	s_barrier
	buffer_gl0_inv
	v_add_f32_e32 v17, v0, v184
	v_fma_f32 v43, -0.5, v21, v1
	s_delay_alu instid0(VALU_DEP_2) | instskip(NEXT) | instid1(VALU_DEP_2)
	v_add_f32_e32 v17, v17, v190
	v_fmamk_f32 v49, v48, 0xbf737871, v43
	v_fmac_f32_e32 v43, 0x3f737871, v48
	s_delay_alu instid0(VALU_DEP_3) | instskip(NEXT) | instid1(VALU_DEP_3)
	v_add_f32_e32 v17, v17, v193
	v_fmac_f32_e32 v49, 0xbf167918, v50
	s_delay_alu instid0(VALU_DEP_3) | instskip(NEXT) | instid1(VALU_DEP_3)
	v_fmac_f32_e32 v43, 0x3f167918, v50
	v_dual_mov_b32 v83, v68 :: v_dual_add_f32 v38, v17, v194
	v_add_f32_e32 v17, v190, v193
	s_delay_alu instid0(VALU_DEP_4) | instskip(NEXT) | instid1(VALU_DEP_4)
	v_fmac_f32_e32 v49, 0x3e9e377a, v19
	v_fmac_f32_e32 v43, 0x3e9e377a, v19
	v_mul_f32_e32 v19, 0xbf4f1bbd, v24
	s_delay_alu instid0(VALU_DEP_4) | instskip(SKIP_2) | instid1(VALU_DEP_4)
	v_fma_f32 v39, -0.5, v17, v0
	v_add_f32_e32 v17, v1, v178
	v_add_f32_e32 v21, v49, v37
	v_fmac_f32_e32 v19, 0x3f167918, v25
	s_delay_alu instid0(VALU_DEP_4) | instskip(NEXT) | instid1(VALU_DEP_4)
	v_fmamk_f32 v41, v40, 0x3f737871, v39
	v_add_f32_e32 v17, v17, v189
	v_fmac_f32_e32 v39, 0xbf737871, v40
	s_delay_alu instid0(VALU_DEP_3) | instskip(NEXT) | instid1(VALU_DEP_3)
	v_fmac_f32_e32 v41, 0x3f167918, v42
	v_add_f32_e32 v17, v17, v191
	s_delay_alu instid0(VALU_DEP_3) | instskip(NEXT) | instid1(VALU_DEP_3)
	v_fmac_f32_e32 v39, 0xbf167918, v42
	v_fmac_f32_e32 v41, 0x3e9e377a, v35
	s_delay_alu instid0(VALU_DEP_3) | instskip(SKIP_1) | instid1(VALU_DEP_3)
	v_add_f32_e32 v51, v17, v192
	v_add_f32_e32 v17, v38, v52
	v_dual_fmac_f32 v39, 0x3e9e377a, v35 :: v_dual_add_f32 v20, v41, v36
	s_delay_alu instid0(VALU_DEP_3) | instskip(SKIP_3) | instid1(VALU_DEP_2)
	v_add_f32_e32 v18, v51, v53
	ds_store_2addr_b64 v55, v[17:18], v[20:21] offset1:75
	v_dual_sub_f32 v17, v190, v184 :: v_dual_sub_f32 v18, v193, v194
	v_dual_add_f32 v20, v184, v194 :: v_dual_add_f32 v21, v178, v192
	v_add_f32_e32 v17, v17, v18
	s_delay_alu instid0(VALU_DEP_2) | instskip(SKIP_1) | instid1(VALU_DEP_2)
	v_fma_f32 v18, -0.5, v20, v0
	v_sub_f32_e32 v0, v189, v178
	v_fmamk_f32 v20, v42, 0xbf737871, v18
	v_fmac_f32_e32 v18, 0x3f737871, v42
	s_delay_alu instid0(VALU_DEP_2) | instskip(NEXT) | instid1(VALU_DEP_2)
	v_fmac_f32_e32 v20, 0x3f167918, v40
	v_fmac_f32_e32 v18, 0xbf167918, v40
	s_delay_alu instid0(VALU_DEP_2) | instskip(NEXT) | instid1(VALU_DEP_2)
	v_fmac_f32_e32 v20, 0x3e9e377a, v17
	v_dual_fmac_f32 v18, 0x3e9e377a, v17 :: v_dual_sub_f32 v17, v191, v192
	s_delay_alu instid0(VALU_DEP_1) | instskip(SKIP_4) | instid1(VALU_DEP_4)
	v_add_f32_e32 v0, v0, v17
	v_add_f32_e32 v17, v255, v5
	v_sub_f32_e32 v5, v7, v5
	v_fma_f32 v7, -0.5, v21, v1
	v_add_f32_e32 v1, v195, v222
	v_dual_mov_b32 v255, v200 :: v_dual_fmac_f32 v22, -0.5, v17
	s_delay_alu instid0(VALU_DEP_3) | instskip(SKIP_1) | instid1(VALU_DEP_4)
	v_fmamk_f32 v21, v50, 0x3f737871, v7
	v_fmac_f32_e32 v7, 0xbf737871, v50
	v_fmac_f32_e32 v23, -0.5, v1
	v_dual_sub_f32 v1, v11, v195 :: v_dual_mov_b32 v70, v76
	s_delay_alu instid0(VALU_DEP_4) | instskip(NEXT) | instid1(VALU_DEP_4)
	v_fmac_f32_e32 v21, 0xbf167918, v48
	v_fmac_f32_e32 v7, 0x3f167918, v48
	s_delay_alu instid0(VALU_DEP_3) | instskip(NEXT) | instid1(VALU_DEP_3)
	v_mov_b32_e32 v81, v70
	v_fmac_f32_e32 v21, 0x3e9e377a, v0
	s_delay_alu instid0(VALU_DEP_3) | instskip(SKIP_2) | instid1(VALU_DEP_2)
	v_dual_fmac_f32 v7, 0x3e9e377a, v0 :: v_dual_add_f32 v0, v15, v5
	v_fmamk_f32 v5, v31, 0xbf737871, v22
	v_fmac_f32_e32 v22, 0x3f737871, v31
	v_fmac_f32_e32 v5, 0x3f167918, v30
	s_delay_alu instid0(VALU_DEP_2) | instskip(NEXT) | instid1(VALU_DEP_2)
	v_fmac_f32_e32 v22, 0xbf167918, v30
	v_fmac_f32_e32 v5, 0x3e9e377a, v0
	s_delay_alu instid0(VALU_DEP_2) | instskip(SKIP_2) | instid1(VALU_DEP_4)
	v_fmac_f32_e32 v22, 0x3e9e377a, v0
	v_dual_add_f32 v0, v1, v4 :: v_dual_fmamk_f32 v1, v27, 0x3f737871, v23
	v_fmac_f32_e32 v23, 0xbf737871, v27
	v_mul_f32_e32 v15, 0xbf737871, v5
	s_delay_alu instid0(VALU_DEP_4) | instskip(NEXT) | instid1(VALU_DEP_4)
	v_mul_f32_e32 v17, 0xbe9e377a, v22
	v_fmac_f32_e32 v1, 0xbf167918, v26
	s_delay_alu instid0(VALU_DEP_4) | instskip(NEXT) | instid1(VALU_DEP_2)
	v_fmac_f32_e32 v23, 0x3f167918, v26
	v_fmac_f32_e32 v1, 0x3e9e377a, v0
	s_delay_alu instid0(VALU_DEP_2) | instskip(NEXT) | instid1(VALU_DEP_2)
	v_dual_fmac_f32 v23, 0x3e9e377a, v0 :: v_dual_sub_f32 v34, v180, v185
	v_mul_f32_e32 v11, 0x3f737871, v1
	s_delay_alu instid0(VALU_DEP_2) | instskip(SKIP_2) | instid1(VALU_DEP_4)
	v_fmac_f32_e32 v17, 0x3f737871, v23
	v_mul_f32_e32 v23, 0xbe9e377a, v23
	v_fmac_f32_e32 v15, 0x3e9e377a, v1
	v_fmac_f32_e32 v11, 0x3e9e377a, v5
	s_delay_alu instid0(VALU_DEP_3) | instskip(NEXT) | instid1(VALU_DEP_3)
	v_dual_add_f32 v4, v18, v17 :: v_dual_fmac_f32 v23, 0xbf737871, v22
	v_dual_mul_f32 v22, 0xbf4f1bbd, v25 :: v_dual_add_f32 v1, v21, v15
	s_delay_alu instid0(VALU_DEP_3) | instskip(NEXT) | instid1(VALU_DEP_3)
	v_add_f32_e32 v0, v20, v11
	v_dual_sub_f32 v30, v176, v8 :: v_dual_add_f32 v5, v7, v23
	s_delay_alu instid0(VALU_DEP_3)
	v_fmac_f32_e32 v22, 0xbf167918, v24
	v_add_nc_u32_e32 v24, 0x800, v55
	ds_store_2addr_b64 v55, v[0:1], v[4:5] offset0:150 offset1:225
	v_dual_sub_f32 v0, v38, v52 :: v_dual_sub_f32 v1, v51, v53
	v_add_f32_e32 v4, v39, v19
	v_add_f32_e32 v5, v43, v22
	scratch_store_b32 off, v24, off offset:308 ; 4-byte Folded Spill
	v_sub_f32_e32 v38, v181, v186
	ds_store_2addr_b64 v24, v[4:5], v[0:1] offset0:44 offset1:119
	v_sub_f32_e32 v0, v41, v36
	v_dual_sub_f32 v1, v49, v37 :: v_dual_sub_f32 v4, v20, v11
	v_sub_f32_e32 v5, v21, v15
	v_add_nc_u32_e32 v11, 0xc00, v55
	s_clause 0x1
	scratch_store_b32 off, v11, off offset:312
	scratch_store_b32 off, v55, off offset:444
	ds_store_2addr_b64 v11, v[0:1], v[4:5] offset0:66 offset1:141
	v_dual_sub_f32 v0, v18, v17 :: v_dual_sub_f32 v1, v7, v23
	v_sub_f32_e32 v4, v39, v19
	v_sub_f32_e32 v5, v43, v22
	v_add_nc_u32_e32 v7, 0x1000, v55
	v_sub_f32_e32 v22, v9, v187
	v_dual_sub_f32 v20, v12, v188 :: v_dual_sub_f32 v21, v10, v14
	v_sub_f32_e32 v36, v177, v13
	ds_store_2addr_b64 v7, v[0:1], v[4:5] offset0:88 offset1:163
	v_sub_f32_e32 v0, v177, v181
	v_sub_f32_e32 v1, v13, v186
	scratch_store_b32 off, v7, off offset:316 ; 4-byte Folded Spill
	v_add_f32_e32 v5, v180, v185
	v_add_f32_e32 v4, v182, v9
	;; [unrolled: 1-line block ×3, first 2 shown]
	v_sub_f32_e32 v0, v176, v180
	v_sub_f32_e32 v1, v8, v185
	v_sub_f32_e32 v23, v16, v6
	v_fma_f32 v35, -0.5, v5, v3
	v_add_f32_e32 v4, v4, v16
	s_delay_alu instid0(VALU_DEP_4) | instskip(SKIP_4) | instid1(VALU_DEP_3)
	v_add_f32_e32 v11, v0, v1
	v_sub_f32_e32 v0, v12, v10
	v_sub_f32_e32 v1, v188, v14
	v_fmamk_f32 v37, v36, 0xbf737871, v35
	v_fmac_f32_e32 v35, 0x3f737871, v36
	v_dual_add_f32 v15, v0, v1 :: v_dual_sub_f32 v0, v9, v16
	v_sub_f32_e32 v1, v187, v6
	s_delay_alu instid0(VALU_DEP_4) | instskip(NEXT) | instid1(VALU_DEP_4)
	v_fmac_f32_e32 v37, 0xbf167918, v38
	v_fmac_f32_e32 v35, 0x3f167918, v38
	s_delay_alu instid0(VALU_DEP_3) | instskip(NEXT) | instid1(VALU_DEP_3)
	v_dual_add_f32 v17, v0, v1 :: v_dual_add_f32 v0, v10, v14
	v_fmac_f32_e32 v37, 0x3e9e377a, v11
	s_delay_alu instid0(VALU_DEP_3) | instskip(NEXT) | instid1(VALU_DEP_3)
	v_fmac_f32_e32 v35, 0x3e9e377a, v11
	v_fma_f32 v18, -0.5, v0, v179
	s_delay_alu instid0(VALU_DEP_1) | instskip(SKIP_1) | instid1(VALU_DEP_2)
	v_fmamk_f32 v1, v22, 0x3f737871, v18
	v_fmac_f32_e32 v18, 0xbf737871, v22
	v_fmac_f32_e32 v1, 0x3f167918, v23
	s_delay_alu instid0(VALU_DEP_2) | instskip(NEXT) | instid1(VALU_DEP_2)
	v_fmac_f32_e32 v18, 0xbf167918, v23
	v_dual_fmac_f32 v1, 0x3e9e377a, v15 :: v_dual_add_f32 v0, v16, v6
	v_add_f32_e32 v4, v4, v6
	s_delay_alu instid0(VALU_DEP_3) | instskip(NEXT) | instid1(VALU_DEP_3)
	v_fmac_f32_e32 v18, 0x3e9e377a, v15
	v_mul_f32_e32 v25, 0xbf167918, v1
	s_delay_alu instid0(VALU_DEP_4) | instskip(NEXT) | instid1(VALU_DEP_4)
	v_fma_f32 v19, -0.5, v0, v182
	v_add_f32_e32 v41, v4, v187
	s_delay_alu instid0(VALU_DEP_2) | instskip(SKIP_1) | instid1(VALU_DEP_2)
	v_fmamk_f32 v0, v20, 0xbf737871, v19
	v_fmac_f32_e32 v19, 0x3f737871, v20
	v_fmac_f32_e32 v0, 0xbf167918, v21
	s_delay_alu instid0(VALU_DEP_2) | instskip(NEXT) | instid1(VALU_DEP_2)
	v_fmac_f32_e32 v19, 0x3f167918, v21
	v_fmac_f32_e32 v0, 0x3e9e377a, v17
	s_delay_alu instid0(VALU_DEP_2) | instskip(NEXT) | instid1(VALU_DEP_2)
	v_fmac_f32_e32 v19, 0x3e9e377a, v17
	v_mul_f32_e32 v24, 0x3f167918, v0
	v_fmac_f32_e32 v25, 0x3f4f1bbd, v0
	v_and_b32_e32 v0, 0xffff, v170
	s_delay_alu instid0(VALU_DEP_4) | instskip(NEXT) | instid1(VALU_DEP_4)
	v_mul_f32_e32 v11, 0xbf4f1bbd, v19
	v_dual_fmac_f32 v24, 0x3f4f1bbd, v1 :: v_dual_add_f32 v1, v179, v12
	s_delay_alu instid0(VALU_DEP_3) | instskip(SKIP_1) | instid1(VALU_DEP_4)
	v_mul_u32_u24_e32 v0, 0x2ee, v0
	v_add_f32_e32 v5, v37, v25
	v_fmac_f32_e32 v11, 0xbf167918, v18
	s_delay_alu instid0(VALU_DEP_4) | instskip(NEXT) | instid1(VALU_DEP_4)
	v_add_f32_e32 v1, v1, v10
	v_add_lshl_u32 v42, v0, v56, 3
	s_delay_alu instid0(VALU_DEP_2) | instskip(NEXT) | instid1(VALU_DEP_1)
	v_dual_add_f32 v0, v2, v177 :: v_dual_add_f32 v1, v1, v14
	v_add_f32_e32 v0, v0, v181
	s_delay_alu instid0(VALU_DEP_2) | instskip(NEXT) | instid1(VALU_DEP_2)
	v_add_f32_e32 v40, v1, v188
	v_add_f32_e32 v0, v0, v186
	s_delay_alu instid0(VALU_DEP_1) | instskip(SKIP_1) | instid1(VALU_DEP_1)
	v_add_f32_e32 v26, v0, v13
	v_add_f32_e32 v0, v181, v186
	v_fma_f32 v27, -0.5, v0, v2
	s_delay_alu instid0(VALU_DEP_1) | instskip(NEXT) | instid1(VALU_DEP_1)
	v_dual_add_f32 v0, v3, v176 :: v_dual_fmamk_f32 v31, v30, 0x3f737871, v27
	v_dual_add_f32 v0, v0, v180 :: v_dual_fmac_f32 v27, 0xbf737871, v30
	s_delay_alu instid0(VALU_DEP_1) | instskip(NEXT) | instid1(VALU_DEP_2)
	v_dual_fmac_f32 v31, 0x3f167918, v34 :: v_dual_add_f32 v0, v0, v185
	v_fmac_f32_e32 v27, 0xbf167918, v34
	s_delay_alu instid0(VALU_DEP_2) | instskip(NEXT) | instid1(VALU_DEP_3)
	v_fmac_f32_e32 v31, 0x3e9e377a, v7
	v_add_f32_e32 v39, v0, v8
	s_delay_alu instid0(VALU_DEP_3) | instskip(SKIP_2) | instid1(VALU_DEP_4)
	v_fmac_f32_e32 v27, 0x3e9e377a, v7
	v_mul_f32_e32 v7, 0xbf4f1bbd, v18
	v_sub_f32_e32 v18, v46, v174
	v_dual_add_f32 v0, v26, v40 :: v_dual_add_f32 v1, v39, v41
	s_delay_alu instid0(VALU_DEP_3)
	v_dual_add_f32 v4, v31, v24 :: v_dual_fmac_f32 v7, 0x3f167918, v19
	ds_store_2addr_b64 v42, v[0:1], v[4:5] offset1:75
	v_add_f32_e32 v4, v177, v13
	v_sub_f32_e32 v0, v181, v177
	v_sub_f32_e32 v1, v186, v13
	v_add_f32_e32 v5, v176, v8
	v_sub_f32_e32 v8, v185, v8
	v_fma_f32 v2, -0.5, v4, v2
	v_add_f32_e32 v4, v12, v188
	v_add_f32_e32 v0, v0, v1
	v_sub_f32_e32 v1, v180, v176
	v_fmac_f32_e32 v3, -0.5, v5
	v_fmamk_f32 v13, v34, 0xbf737871, v2
	v_dual_fmac_f32 v2, 0x3f737871, v34 :: v_dual_sub_f32 v5, v14, v188
	v_dual_fmac_f32 v179, -0.5, v4 :: v_dual_sub_f32 v4, v6, v187
	s_delay_alu instid0(VALU_DEP_3) | instskip(NEXT) | instid1(VALU_DEP_3)
	v_fmac_f32_e32 v13, 0x3f167918, v30
	v_fmac_f32_e32 v2, 0xbf167918, v30
	v_add_nc_u32_e32 v14, 0x800, v42
	s_delay_alu instid0(VALU_DEP_3) | instskip(NEXT) | instid1(VALU_DEP_3)
	v_fmac_f32_e32 v13, 0x3e9e377a, v0
	v_fmac_f32_e32 v2, 0x3e9e377a, v0
	v_add_f32_e32 v0, v1, v8
	v_fmamk_f32 v8, v38, 0x3f737871, v3
	v_fmac_f32_e32 v3, 0xbf737871, v38
	v_sub_f32_e32 v1, v10, v12
	s_delay_alu instid0(VALU_DEP_3) | instskip(NEXT) | instid1(VALU_DEP_3)
	v_fmac_f32_e32 v8, 0xbf167918, v36
	v_fmac_f32_e32 v3, 0x3f167918, v36
	s_delay_alu instid0(VALU_DEP_2) | instskip(NEXT) | instid1(VALU_DEP_2)
	v_fmac_f32_e32 v8, 0x3e9e377a, v0
	v_dual_fmac_f32 v3, 0x3e9e377a, v0 :: v_dual_add_f32 v0, v1, v5
	v_add_f32_e32 v1, v9, v187
	v_fmamk_f32 v5, v23, 0xbf737871, v179
	s_delay_alu instid0(VALU_DEP_2) | instskip(SKIP_1) | instid1(VALU_DEP_3)
	v_dual_fmac_f32 v179, 0x3f737871, v23 :: v_dual_fmac_f32 v182, -0.5, v1
	v_sub_f32_e32 v1, v16, v9
	v_fmac_f32_e32 v5, 0x3f167918, v22
	s_delay_alu instid0(VALU_DEP_3) | instskip(NEXT) | instid1(VALU_DEP_2)
	v_dual_fmac_f32 v179, 0xbf167918, v22 :: v_dual_sub_f32 v22, v47, v175
	v_fmac_f32_e32 v5, 0x3e9e377a, v0
	s_delay_alu instid0(VALU_DEP_2)
	v_fmac_f32_e32 v179, 0x3e9e377a, v0
	v_add_f32_e32 v0, v1, v4
	v_fmamk_f32 v1, v21, 0x3f737871, v182
	v_fmac_f32_e32 v182, 0xbf737871, v21
	v_mul_f32_e32 v9, 0xbf737871, v5
	v_mul_f32_e32 v10, 0xbe9e377a, v179
	v_add_f32_e32 v21, v160, v167
	v_fmac_f32_e32 v1, 0xbf167918, v20
	v_fmac_f32_e32 v182, 0x3f167918, v20
	v_sub_f32_e32 v20, v160, v167
	s_delay_alu instid0(VALU_DEP_4) | instskip(NEXT) | instid1(VALU_DEP_4)
	v_fma_f32 v21, -0.5, v21, v29
	v_fmac_f32_e32 v1, 0x3e9e377a, v0
	s_delay_alu instid0(VALU_DEP_4) | instskip(NEXT) | instid1(VALU_DEP_3)
	v_fmac_f32_e32 v182, 0x3e9e377a, v0
	v_fmamk_f32 v23, v22, 0xbf737871, v21
	s_delay_alu instid0(VALU_DEP_3) | instskip(NEXT) | instid1(VALU_DEP_3)
	v_mul_f32_e32 v6, 0x3f737871, v1
	v_mul_f32_e32 v12, 0xbe9e377a, v182
	v_fmac_f32_e32 v9, 0x3e9e377a, v1
	v_fmac_f32_e32 v10, 0x3f737871, v182
	;; [unrolled: 1-line block ×4, first 2 shown]
	s_delay_alu instid0(VALU_DEP_4) | instskip(NEXT) | instid1(VALU_DEP_4)
	v_dual_fmac_f32 v12, 0xbf737871, v179 :: v_dual_add_f32 v1, v8, v9
	v_add_f32_e32 v4, v2, v10
	s_delay_alu instid0(VALU_DEP_2)
	v_dual_add_f32 v0, v13, v6 :: v_dual_add_f32 v5, v3, v12
	ds_store_2addr_b64 v42, v[0:1], v[4:5] offset0:150 offset1:225
	v_dual_sub_f32 v0, v26, v40 :: v_dual_sub_f32 v1, v39, v41
	v_add_f32_e32 v4, v27, v7
	v_add_f32_e32 v5, v35, v11
	ds_store_2addr_b64 v14, v[4:5], v[0:1] offset0:44 offset1:119
	v_dual_sub_f32 v0, v31, v24 :: v_dual_sub_f32 v1, v37, v25
	v_dual_sub_f32 v5, v8, v9 :: v_dual_sub_f32 v24, v163, v168
	v_sub_f32_e32 v4, v13, v6
	v_add_nc_u32_e32 v6, 0xc00, v42
	scratch_store_b32 off, v14, off offset:320 ; 4-byte Folded Spill
	v_sub_f32_e32 v13, v58, v164
	v_fmac_f32_e32 v21, 0x3f167918, v24
	v_fmac_f32_e32 v23, 0xbf167918, v24
	ds_store_2addr_b64 v6, v[0:1], v[4:5] offset0:66 offset1:141
	v_sub_f32_e32 v1, v3, v12
	v_dual_sub_f32 v3, v35, v11 :: v_dual_add_nc_u32 v4, 0x1000, v42
	v_sub_f32_e32 v11, v59, v166
	v_sub_f32_e32 v0, v2, v10
	;; [unrolled: 1-line block ×3, first 2 shown]
	s_clause 0x2
	scratch_store_b32 off, v6, off offset:324
	scratch_store_b32 off, v4, off offset:328
	;; [unrolled: 1-line block ×3, first 2 shown]
	v_sub_f32_e32 v10, v45, v173
	ds_store_2addr_b64 v4, v[0:1], v[2:3] offset0:88 offset1:163
	v_sub_f32_e32 v0, v47, v163
	v_dual_sub_f32 v1, v175, v168 :: v_dual_sub_f32 v12, v44, v169
	v_dual_add_f32 v2, v32, v45 :: v_dual_add_f32 v3, v33, v44
	s_delay_alu instid0(VALU_DEP_2) | instskip(SKIP_2) | instid1(VALU_DEP_4)
	v_add_f32_e32 v4, v0, v1
	v_sub_f32_e32 v0, v46, v160
	v_sub_f32_e32 v1, v174, v167
	v_dual_add_f32 v2, v2, v59 :: v_dual_add_f32 v3, v3, v58
	s_delay_alu instid0(VALU_DEP_2) | instskip(SKIP_1) | instid1(VALU_DEP_3)
	v_dual_add_f32 v5, v0, v1 :: v_dual_sub_f32 v0, v45, v59
	v_sub_f32_e32 v1, v173, v166
	v_dual_add_f32 v2, v2, v166 :: v_dual_add_f32 v3, v3, v164
	s_delay_alu instid0(VALU_DEP_3) | instskip(SKIP_1) | instid1(VALU_DEP_4)
	v_fmac_f32_e32 v23, 0x3e9e377a, v5
	v_fmac_f32_e32 v21, 0x3e9e377a, v5
	v_add_f32_e32 v6, v0, v1
	v_dual_sub_f32 v0, v44, v58 :: v_dual_sub_f32 v1, v169, v164
	v_add_f32_e32 v26, v2, v173
	v_add_f32_e32 v27, v3, v169
	s_delay_alu instid0(VALU_DEP_3) | instskip(NEXT) | instid1(VALU_DEP_1)
	v_dual_add_f32 v7, v0, v1 :: v_dual_add_f32 v0, v59, v166
	v_fma_f32 v8, -0.5, v0, v32
	s_delay_alu instid0(VALU_DEP_1) | instskip(NEXT) | instid1(VALU_DEP_1)
	v_dual_add_f32 v0, v58, v164 :: v_dual_fmamk_f32 v1, v12, 0x3f737871, v8
	v_fma_f32 v9, -0.5, v0, v33
	v_fmac_f32_e32 v8, 0xbf737871, v12
	s_delay_alu instid0(VALU_DEP_3) | instskip(NEXT) | instid1(VALU_DEP_3)
	v_fmac_f32_e32 v1, 0x3f167918, v13
	v_fmamk_f32 v0, v10, 0xbf737871, v9
	v_fmac_f32_e32 v9, 0x3f737871, v10
	s_delay_alu instid0(VALU_DEP_4) | instskip(NEXT) | instid1(VALU_DEP_4)
	v_fmac_f32_e32 v8, 0xbf167918, v13
	v_fmac_f32_e32 v1, 0x3e9e377a, v6
	s_delay_alu instid0(VALU_DEP_4) | instskip(NEXT) | instid1(VALU_DEP_4)
	v_fmac_f32_e32 v0, 0xbf167918, v11
	;; [unrolled: 3-line block ×3, first 2 shown]
	v_mul_f32_e32 v15, 0xbf167918, v1
	s_delay_alu instid0(VALU_DEP_4) | instskip(NEXT) | instid1(VALU_DEP_4)
	v_fmac_f32_e32 v0, 0x3e9e377a, v7
	v_fmac_f32_e32 v9, 0x3e9e377a, v7
	s_delay_alu instid0(VALU_DEP_2) | instskip(NEXT) | instid1(VALU_DEP_4)
	v_mul_f32_e32 v14, 0x3f167918, v0
	v_fmac_f32_e32 v15, 0x3f4f1bbd, v0
	v_mad_u16 v0, 0x2ee, v161, v165
	s_delay_alu instid0(VALU_DEP_4) | instskip(NEXT) | instid1(VALU_DEP_4)
	v_mul_f32_e32 v5, 0xbf4f1bbd, v9
	v_dual_fmac_f32 v14, 0x3f4f1bbd, v1 :: v_dual_add_f32 v1, v28, v47
	s_delay_alu instid0(VALU_DEP_3) | instskip(NEXT) | instid1(VALU_DEP_3)
	v_dual_add_f32 v3, v23, v15 :: v_dual_and_b32 v30, 0xffff, v0
	v_fmac_f32_e32 v5, 0xbf167918, v8
	s_delay_alu instid0(VALU_DEP_2) | instskip(NEXT) | instid1(VALU_DEP_1)
	v_dual_add_f32 v1, v1, v163 :: v_dual_lshlrev_b32 v30, 3, v30
	v_add_f32_e32 v1, v1, v168
	s_delay_alu instid0(VALU_DEP_1) | instskip(NEXT) | instid1(VALU_DEP_1)
	v_dual_mov_b32 v37, v30 :: v_dual_add_f32 v16, v1, v175
	v_dual_add_f32 v1, v163, v168 :: v_dual_add_nc_u32 v6, 0x800, v37
	scratch_store_b32 off, v37, off offset:488 ; 4-byte Folded Spill
	v_add_f32_e32 v0, v16, v26
	v_fma_f32 v17, -0.5, v1, v28
	v_add_f32_e32 v1, v29, v46
	scratch_store_b32 off, v6, off offset:332 ; 4-byte Folded Spill
	v_fmamk_f32 v19, v18, 0x3f737871, v17
	v_add_f32_e32 v1, v1, v160
	v_fmac_f32_e32 v17, 0xbf737871, v18
	s_delay_alu instid0(VALU_DEP_3) | instskip(NEXT) | instid1(VALU_DEP_3)
	v_fmac_f32_e32 v19, 0x3f167918, v20
	v_add_f32_e32 v1, v1, v167
	s_delay_alu instid0(VALU_DEP_3) | instskip(NEXT) | instid1(VALU_DEP_3)
	v_fmac_f32_e32 v17, 0xbf167918, v20
	v_fmac_f32_e32 v19, 0x3e9e377a, v4
	s_delay_alu instid0(VALU_DEP_3) | instskip(NEXT) | instid1(VALU_DEP_3)
	v_add_f32_e32 v25, v1, v174
	v_fmac_f32_e32 v17, 0x3e9e377a, v4
	v_mul_f32_e32 v4, 0xbf4f1bbd, v8
	s_delay_alu instid0(VALU_DEP_3) | instskip(NEXT) | instid1(VALU_DEP_2)
	v_dual_add_f32 v2, v19, v14 :: v_dual_add_f32 v1, v25, v27
	v_fmac_f32_e32 v4, 0x3f167918, v9
	ds_store_2addr_b64 v30, v[0:1], v[2:3] offset1:75
	v_add_f32_e32 v2, v47, v175
	v_sub_f32_e32 v0, v163, v47
	v_sub_f32_e32 v1, v168, v175
	v_add_f32_e32 v3, v46, v174
	v_sub_f32_e32 v30, v167, v174
	v_fma_f32 v28, -0.5, v2, v28
	v_add_f32_e32 v2, v45, v173
	v_add_f32_e32 v0, v0, v1
	v_sub_f32_e32 v1, v160, v46
	v_fmac_f32_e32 v29, -0.5, v3
	v_fmamk_f32 v31, v20, 0xbf737871, v28
	v_dual_fmac_f32 v28, 0x3f737871, v20 :: v_dual_sub_f32 v3, v166, v173
	v_fmac_f32_e32 v32, -0.5, v2
	s_delay_alu instid0(VALU_DEP_3) | instskip(NEXT) | instid1(VALU_DEP_3)
	v_dual_sub_f32 v2, v164, v169 :: v_dual_fmac_f32 v31, 0x3f167918, v18
	v_fmac_f32_e32 v28, 0xbf167918, v18
	s_delay_alu instid0(VALU_DEP_2) | instskip(NEXT) | instid1(VALU_DEP_2)
	v_fmac_f32_e32 v31, 0x3e9e377a, v0
	v_fmac_f32_e32 v28, 0x3e9e377a, v0
	v_add_f32_e32 v0, v1, v30
	v_fmamk_f32 v30, v24, 0x3f737871, v29
	v_fmac_f32_e32 v29, 0xbf737871, v24
	s_delay_alu instid0(VALU_DEP_2) | instskip(NEXT) | instid1(VALU_DEP_2)
	v_dual_sub_f32 v1, v59, v45 :: v_dual_fmac_f32 v30, 0xbf167918, v22
	v_fmac_f32_e32 v29, 0x3f167918, v22
	s_delay_alu instid0(VALU_DEP_2) | instskip(NEXT) | instid1(VALU_DEP_2)
	v_fmac_f32_e32 v30, 0x3e9e377a, v0
	v_dual_fmac_f32 v29, 0x3e9e377a, v0 :: v_dual_add_f32 v0, v1, v3
	v_add_f32_e32 v1, v44, v169
	v_fmamk_f32 v3, v13, 0xbf737871, v32
	v_fmac_f32_e32 v32, 0x3f737871, v13
	s_delay_alu instid0(VALU_DEP_3) | instskip(SKIP_1) | instid1(VALU_DEP_4)
	v_fmac_f32_e32 v33, -0.5, v1
	v_sub_f32_e32 v1, v58, v44
	v_fmac_f32_e32 v3, 0x3f167918, v12
	s_delay_alu instid0(VALU_DEP_4) | instskip(NEXT) | instid1(VALU_DEP_2)
	v_fmac_f32_e32 v32, 0xbf167918, v12
	v_fmac_f32_e32 v3, 0x3e9e377a, v0
	s_delay_alu instid0(VALU_DEP_2) | instskip(SKIP_2) | instid1(VALU_DEP_4)
	v_fmac_f32_e32 v32, 0x3e9e377a, v0
	v_dual_add_f32 v0, v1, v2 :: v_dual_fmamk_f32 v1, v11, 0x3f737871, v33
	v_fmac_f32_e32 v33, 0xbf737871, v11
	v_mul_f32_e32 v35, 0xbf737871, v3
	s_delay_alu instid0(VALU_DEP_4) | instskip(NEXT) | instid1(VALU_DEP_4)
	v_mul_f32_e32 v36, 0xbe9e377a, v32
	v_fmac_f32_e32 v1, 0xbf167918, v10
	s_delay_alu instid0(VALU_DEP_4) | instskip(NEXT) | instid1(VALU_DEP_2)
	v_fmac_f32_e32 v33, 0x3f167918, v10
	v_fmac_f32_e32 v1, 0x3e9e377a, v0
	s_delay_alu instid0(VALU_DEP_2) | instskip(NEXT) | instid1(VALU_DEP_2)
	v_fmac_f32_e32 v33, 0x3e9e377a, v0
	v_mul_f32_e32 v34, 0x3f737871, v1
	s_delay_alu instid0(VALU_DEP_2) | instskip(SKIP_1) | instid1(VALU_DEP_3)
	v_fmac_f32_e32 v36, 0x3f737871, v33
	v_mul_f32_e32 v33, 0xbe9e377a, v33
	v_dual_fmac_f32 v35, 0x3e9e377a, v1 :: v_dual_fmac_f32 v34, 0x3e9e377a, v3
	s_delay_alu instid0(VALU_DEP_3) | instskip(NEXT) | instid1(VALU_DEP_3)
	v_add_f32_e32 v2, v28, v36
	v_fmac_f32_e32 v33, 0xbf737871, v32
	s_delay_alu instid0(VALU_DEP_3) | instskip(NEXT) | instid1(VALU_DEP_2)
	v_dual_add_f32 v1, v30, v35 :: v_dual_add_f32 v0, v31, v34
	v_add_f32_e32 v3, v29, v33
	ds_store_2addr_b64 v37, v[0:1], v[2:3] offset0:150 offset1:225
	v_dual_sub_f32 v0, v16, v26 :: v_dual_sub_f32 v1, v25, v27
	v_add_f32_e32 v2, v17, v4
	v_add_f32_e32 v3, v21, v5
	ds_store_2addr_b64 v6, v[2:3], v[0:1] offset0:44 offset1:119
	v_sub_f32_e32 v0, v19, v14
	v_sub_f32_e32 v1, v23, v15
	v_dual_sub_f32 v2, v31, v34 :: v_dual_sub_f32 v3, v30, v35
	v_add_nc_u32_e32 v6, 0xc00, v37
	ds_store_2addr_b64 v6, v[0:1], v[2:3] offset0:66 offset1:141
	v_dual_sub_f32 v1, v29, v33 :: v_dual_sub_f32 v0, v28, v36
	v_sub_f32_e32 v2, v17, v4
	v_sub_f32_e32 v3, v21, v5
	v_add_nc_u32_e32 v4, 0x1000, v37
	scratch_store_b32 off, v6, off offset:336 ; 4-byte Folded Spill
	v_add_nc_u32_e32 v28, 0x4800, v209
	ds_store_2addr_b64 v4, v[0:1], v[2:3] offset0:88 offset1:163
	v_lshlrev_b32_e32 v0, 5, v54
	scratch_store_b32 off, v4, off offset:340 ; 4-byte Folded Spill
	v_lshlrev_b32_e32 v4, 5, v57
	s_waitcnt lgkmcnt(0)
	s_waitcnt_vscnt null, 0x0
	s_barrier
	v_add_co_u32 v2, s2, s10, v0
	s_delay_alu instid0(VALU_DEP_1) | instskip(SKIP_1) | instid1(VALU_DEP_3)
	v_add_co_ci_u32_e64 v3, null, s11, 0, s2
	v_add_co_u32 v4, s2, s10, v4
	v_add_co_u32 v0, vcc_lo, 0x1000, v2
	s_delay_alu instid0(VALU_DEP_3) | instskip(SKIP_4) | instid1(VALU_DEP_3)
	v_add_co_ci_u32_e32 v1, vcc_lo, 0, v3, vcc_lo
	v_add_co_u32 v2, vcc_lo, 0x1758, v2
	v_add_co_ci_u32_e64 v7, null, s11, 0, s2
	v_add_co_ci_u32_e32 v3, vcc_lo, 0, v3, vcc_lo
	v_add_co_u32 v5, vcc_lo, 0x1000, v4
	v_add_co_ci_u32_e32 v6, vcc_lo, 0, v7, vcc_lo
	v_add_co_u32 v10, vcc_lo, 0x1758, v4
	buffer_gl0_inv
	s_clause 0x1
	global_load_b128 v[249:252], v[0:1], off offset:1880
	global_load_b128 v[20:23], v[2:3], off offset:16
	v_add_co_ci_u32_e32 v11, vcc_lo, 0, v7, vcc_lo
	ds_load_2addr_b64 v[1:4], v76 offset0:110 offset1:235
	s_clause 0x1
	global_load_b128 v[24:27], v[5:6], off offset:1880
	global_load_b128 v[16:19], v[10:11], off offset:16
	ds_load_2addr_b64 v[11:14], v78 offset0:92 offset1:217
	ds_load_2addr_b64 v[163:166], v74 offset0:74 offset1:199
	v_mov_b32_e32 v72, v28
	s_waitcnt vmcnt(2) lgkmcnt(0)
	v_dual_mul_f32 v0, v2, v250 :: v_dual_mul_f32 v15, v163, v21
	v_mul_f32_e32 v9, v1, v250
	scratch_store_b128 off, v[20:23], off offset:364 ; 16-byte Folded Spill
	v_fma_f32 v8, v1, v249, -v0
	s_waitcnt vmcnt(0)
	scratch_store_b128 off, v[16:19], off offset:344 ; 16-byte Folded Spill
	v_mul_f32_e32 v0, v4, v25
	v_mul_f32_e32 v33, v165, v17
	v_dual_fmac_f32 v15, v164, v20 :: v_dual_mul_f32 v32, v3, v25
	v_fmac_f32_e32 v9, v2, v249
	s_delay_alu instid0(VALU_DEP_4)
	v_fma_f32 v60, v3, v24, -v0
	v_mul_f32_e32 v0, v12, v252
	v_fmac_f32_e32 v33, v166, v16
	v_dual_mul_f32 v3, v13, v27 :: v_dual_fmac_f32 v32, v4, v24
	scratch_store_b128 off, v[24:27], off offset:428 ; 16-byte Folded Spill
	v_fma_f32 v10, v11, v251, -v0
	v_dual_mul_f32 v0, v14, v27 :: v_dual_mul_f32 v11, v11, v252
	v_fmac_f32_e32 v3, v14, v26
	s_delay_alu instid0(VALU_DEP_2) | instskip(SKIP_1) | instid1(VALU_DEP_3)
	v_fma_f32 v56, v13, v26, -v0
	v_mul_f32_e32 v0, v164, v21
	v_dual_fmac_f32 v11, v12, v251 :: v_dual_sub_f32 v48, v3, v33
	s_delay_alu instid0(VALU_DEP_2) | instskip(SKIP_1) | instid1(VALU_DEP_1)
	v_fma_f32 v12, v163, v20, -v0
	v_mul_f32_e32 v0, v166, v17
	v_fma_f32 v222, v165, v16, -v0
	ds_load_2addr_b64 v[163:166], v77 offset0:56 offset1:181
	v_sub_f32_e32 v50, v56, v222
	s_waitcnt lgkmcnt(0)
	v_mul_f32_e32 v0, v164, v23
	v_mul_f32_e32 v14, v163, v23
	s_delay_alu instid0(VALU_DEP_2) | instskip(SKIP_1) | instid1(VALU_DEP_2)
	v_fma_f32 v13, v163, v22, -v0
	v_mul_f32_e32 v0, v166, v19
	v_dual_fmac_f32 v14, v164, v22 :: v_dual_sub_f32 v1, v13, v12
	s_delay_alu instid0(VALU_DEP_2) | instskip(SKIP_2) | instid1(VALU_DEP_4)
	v_fma_f32 v230, v165, v18, -v0
	v_mul_f32_e32 v2, v165, v19
	v_sub_f32_e32 v0, v8, v10
	v_add_f32_e32 v5, v9, v14
	v_sub_f32_e32 v35, v8, v13
	v_sub_f32_e32 v51, v60, v230
	v_fmac_f32_e32 v2, v166, v18
	ds_load_2addr_b64 v[166:169], v209 offset1:125
	v_dual_add_f32 v163, v0, v1 :: v_dual_add_f32 v0, v10, v12
	v_add_f32_e32 v1, v11, v15
	v_dual_add_f32 v7, v8, v13 :: v_dual_sub_f32 v36, v10, v12
	v_sub_f32_e32 v34, v9, v14
	v_sub_f32_e32 v6, v15, v14
	;; [unrolled: 1-line block ×3, first 2 shown]
	s_waitcnt lgkmcnt(0)
	v_fma_f32 v160, -0.5, v0, v166
	v_fma_f32 v161, -0.5, v1, v167
	v_sub_f32_e32 v0, v9, v11
	v_dual_sub_f32 v1, v14, v15 :: v_dual_add_f32 v4, v167, v9
	v_fma_f32 v165, -0.5, v5, v167
	s_delay_alu instid0(VALU_DEP_4) | instskip(NEXT) | instid1(VALU_DEP_3)
	v_fmamk_f32 v167, v35, 0xbf737871, v161
	v_dual_fmac_f32 v161, 0x3f737871, v35 :: v_dual_add_f32 v0, v0, v1
	s_delay_alu instid0(VALU_DEP_4) | instskip(SKIP_3) | instid1(VALU_DEP_4)
	v_dual_add_f32 v1, v166, v8 :: v_dual_add_f32 v4, v4, v11
	v_sub_f32_e32 v8, v10, v8
	v_fma_f32 v164, -0.5, v7, v166
	v_fmac_f32_e32 v167, 0xbf167918, v36
	v_dual_add_f32 v1, v1, v10 :: v_dual_add_f32 v4, v4, v15
	v_fmac_f32_e32 v161, 0x3f167918, v36
	v_dual_fmamk_f32 v166, v34, 0x3f737871, v160 :: v_dual_fmamk_f32 v171, v36, 0x3f737871, v165
	s_delay_alu instid0(VALU_DEP_3) | instskip(NEXT) | instid1(VALU_DEP_4)
	v_add_f32_e32 v1, v1, v12
	v_dual_add_f32 v31, v4, v14 :: v_dual_sub_f32 v4, v11, v9
	v_sub_f32_e32 v9, v12, v13
	s_delay_alu instid0(VALU_DEP_3) | instskip(NEXT) | instid1(VALU_DEP_3)
	v_dual_fmac_f32 v167, 0x3e9e377a, v0 :: v_dual_add_f32 v30, v1, v13
	v_dual_sub_f32 v1, v11, v15 :: v_dual_add_f32 v38, v4, v6
	s_delay_alu instid0(VALU_DEP_3)
	v_add_f32_e32 v37, v8, v9
	ds_load_2addr_b64 v[8:11], v210 offset0:122 offset1:247
	ds_load_2addr_b64 v[12:15], v69 offset0:104 offset1:229
	;; [unrolled: 1-line block ×10, first 2 shown]
	v_dual_fmac_f32 v165, 0xbf737871, v36 :: v_dual_fmamk_f32 v170, v1, 0xbf737871, v164
	v_fmac_f32_e32 v164, 0x3f737871, v1
	v_fmac_f32_e32 v160, 0xbf737871, v34
	;; [unrolled: 1-line block ×3, first 2 shown]
	v_add_f32_e32 v0, v168, v60
	v_fmac_f32_e32 v166, 0x3f167918, v1
	v_fmac_f32_e32 v170, 0x3f167918, v34
	v_dual_fmac_f32 v171, 0xbf167918, v35 :: v_dual_fmac_f32 v164, 0xbf167918, v34
	v_fmac_f32_e32 v165, 0x3f167918, v35
	v_fmac_f32_e32 v160, 0xbf167918, v1
	v_add_f32_e32 v0, v0, v56
	v_dual_add_f32 v1, v169, v32 :: v_dual_fmac_f32 v166, 0x3e9e377a, v163
	v_dual_fmac_f32 v170, 0x3e9e377a, v37 :: v_dual_fmac_f32 v171, 0x3e9e377a, v38
	v_dual_fmac_f32 v164, 0x3e9e377a, v37 :: v_dual_fmac_f32 v165, 0x3e9e377a, v38
	s_delay_alu instid0(VALU_DEP_3)
	v_dual_add_f32 v1, v1, v3 :: v_dual_add_f32 v0, v0, v222
	v_fmac_f32_e32 v160, 0x3e9e377a, v163
	ds_store_b64 v209, v[166:167] offset:6000
	ds_store_b64 v209, v[170:171] offset:12000
	;; [unrolled: 1-line block ×4, first 2 shown]
	v_dual_add_f32 v1, v1, v33 :: v_dual_add_f32 v160, v0, v230
	v_lshlrev_b32_e32 v0, 5, v162
	v_sub_f32_e32 v34, v222, v230
	v_sub_f32_e32 v35, v33, v2
	s_delay_alu instid0(VALU_DEP_4) | instskip(NEXT) | instid1(VALU_DEP_4)
	v_add_f32_e32 v161, v1, v2
	v_add_co_u32 v0, s2, s10, v0
	s_delay_alu instid0(VALU_DEP_1)
	v_add_co_ci_u32_e64 v1, null, s11, 0, s2
	ds_store_2addr_b64 v209, v[30:31], v[160:161] offset1:125
	v_add_co_u32 v30, vcc_lo, 0x1758, v0
	v_add_co_ci_u32_e32 v31, vcc_lo, 0, v1, vcc_lo
	v_add_co_u32 v160, vcc_lo, 0x1000, v0
	v_add_co_ci_u32_e32 v161, vcc_lo, 0, v1, vcc_lo
	s_clause 0x1
	global_load_b128 v[164:167], v[160:161], off offset:1880
	global_load_b128 v[160:163], v[30:31], off offset:16
	v_add_f32_e32 v0, v56, v222
	v_add_f32_e32 v1, v60, v230
	s_delay_alu instid0(VALU_DEP_2) | instskip(NEXT) | instid1(VALU_DEP_2)
	v_fma_f32 v0, -0.5, v0, v168
	v_fma_f32 v168, -0.5, v1, v168
	v_sub_f32_e32 v1, v56, v60
	s_delay_alu instid0(VALU_DEP_1) | instskip(SKIP_1) | instid1(VALU_DEP_2)
	v_dual_add_f32 v36, v1, v34 :: v_dual_add_f32 v1, v3, v33
	v_add_f32_e32 v34, v32, v2
	v_fma_f32 v1, -0.5, v1, v169
	s_delay_alu instid0(VALU_DEP_2) | instskip(SKIP_1) | instid1(VALU_DEP_1)
	v_dual_fmac_f32 v169, -0.5, v34 :: v_dual_sub_f32 v34, v3, v32
	s_waitcnt vmcnt(1) lgkmcnt(13)
	v_dual_add_f32 v37, v34, v35 :: v_dual_mul_f32 v30, v13, v165
	s_waitcnt vmcnt(0) lgkmcnt(10)
	v_dual_mul_f32 v43, v12, v165 :: v_dual_mul_f32 v44, v186, v163
	v_mul_f32_e32 v45, v174, v167
	v_mul_f32_e32 v46, v178, v161
	v_fma_f32 v38, v12, v164, -v30
	s_delay_alu instid0(VALU_DEP_4) | instskip(SKIP_3) | instid1(VALU_DEP_4)
	v_dual_mul_f32 v30, v175, v167 :: v_dual_fmac_f32 v43, v13, v164
	v_fmac_f32_e32 v44, v187, v162
	v_fmac_f32_e32 v45, v175, v166
	;; [unrolled: 1-line block ×3, first 2 shown]
	v_fma_f32 v39, v174, v166, -v30
	v_mul_f32_e32 v30, v179, v161
	v_add_f32_e32 v13, v43, v44
	s_delay_alu instid0(VALU_DEP_4) | instskip(NEXT) | instid1(VALU_DEP_3)
	v_dual_sub_f32 v53, v43, v44 :: v_dual_sub_f32 v52, v45, v46
	v_fma_f32 v40, v178, v160, -v30
	v_mul_f32_e32 v30, v187, v163
	s_delay_alu instid0(VALU_DEP_4) | instskip(NEXT) | instid1(VALU_DEP_3)
	v_fma_f32 v13, -0.5, v13, v9
	v_sub_f32_e32 v54, v39, v40
	s_delay_alu instid0(VALU_DEP_3) | instskip(NEXT) | instid1(VALU_DEP_2)
	v_fma_f32 v41, v186, v162, -v30
	v_dual_sub_f32 v30, v39, v38 :: v_dual_fmamk_f32 v35, v54, 0x3f737871, v13
	s_delay_alu instid0(VALU_DEP_2) | instskip(SKIP_2) | instid1(VALU_DEP_3)
	v_sub_f32_e32 v31, v40, v41
	v_dual_add_f32 v12, v38, v41 :: v_dual_fmac_f32 v13, 0xbf737871, v54
	v_sub_f32_e32 v55, v38, v41
	v_add_f32_e32 v42, v30, v31
	s_delay_alu instid0(VALU_DEP_3) | instskip(SKIP_1) | instid1(VALU_DEP_4)
	v_fma_f32 v12, -0.5, v12, v8
	v_dual_sub_f32 v30, v45, v43 :: v_dual_sub_f32 v31, v46, v44
	v_fmac_f32_e32 v13, 0x3f167918, v55
	v_fmac_f32_e32 v35, 0xbf167918, v55
	s_delay_alu instid0(VALU_DEP_4) | instskip(NEXT) | instid1(VALU_DEP_4)
	v_fmamk_f32 v34, v52, 0xbf737871, v12
	v_dual_fmac_f32 v12, 0x3f737871, v52 :: v_dual_add_f32 v47, v30, v31
	v_fmamk_f32 v30, v48, 0xbf737871, v168
	v_dual_fmac_f32 v168, 0x3f737871, v48 :: v_dual_fmamk_f32 v31, v50, 0x3f737871, v169
	v_fmac_f32_e32 v169, 0xbf737871, v50
	s_delay_alu instid0(VALU_DEP_4) | instskip(SKIP_1) | instid1(VALU_DEP_4)
	v_fmac_f32_e32 v12, 0xbf167918, v53
	v_fmac_f32_e32 v13, 0x3e9e377a, v47
	;; [unrolled: 1-line block ×3, first 2 shown]
	s_delay_alu instid0(VALU_DEP_4) | instskip(NEXT) | instid1(VALU_DEP_4)
	v_dual_fmac_f32 v30, 0x3f167918, v49 :: v_dual_fmac_f32 v169, 0x3f167918, v51
	v_fmac_f32_e32 v12, 0x3e9e377a, v42
	v_fmac_f32_e32 v31, 0xbf167918, v51
	s_delay_alu instid0(VALU_DEP_4) | instskip(SKIP_2) | instid1(VALU_DEP_4)
	v_fmac_f32_e32 v168, 0x3e9e377a, v36
	v_fmac_f32_e32 v34, 0x3f167918, v53
	v_dual_fmac_f32 v169, 0x3e9e377a, v37 :: v_dual_fmac_f32 v30, 0x3e9e377a, v36
	v_fmac_f32_e32 v31, 0x3e9e377a, v37
	s_delay_alu instid0(VALU_DEP_3) | instskip(SKIP_2) | instid1(VALU_DEP_1)
	v_dual_fmac_f32 v35, 0x3e9e377a, v47 :: v_dual_fmac_f32 v34, 0x3e9e377a, v42
	ds_store_2addr_b64 v28, v[168:169], v[12:13] offset0:71 offset1:196
	v_lshlrev_b32_e32 v12, 5, v172
	v_add_co_u32 v168, s2, s10, v12
	s_delay_alu instid0(VALU_DEP_1) | instskip(NEXT) | instid1(VALU_DEP_2)
	v_add_co_ci_u32_e64 v169, null, s11, 0, s2
	v_add_co_u32 v12, vcc_lo, 0x1000, v168
	s_delay_alu instid0(VALU_DEP_2)
	v_add_co_ci_u32_e32 v13, vcc_lo, 0, v169, vcc_lo
	v_add_co_u32 v168, vcc_lo, 0x1758, v168
	v_add_co_ci_u32_e32 v169, vcc_lo, 0, v169, vcc_lo
	s_clause 0x1
	global_load_b128 v[184:187], v[12:13], off offset:1880
	global_load_b128 v[172:175], v[168:169], off offset:16
	v_lshlrev_b32_e32 v168, 5, v229
	s_waitcnt vmcnt(1)
	v_mul_f32_e32 v12, v15, v185
	v_mul_f32_e32 v57, v14, v185
	;; [unrolled: 1-line block ×3, first 2 shown]
	s_waitcnt vmcnt(0)
	v_mul_f32_e32 v61, v180, v173
	v_mul_f32_e32 v63, v188, v175
	v_fma_f32 v29, v14, v184, -v12
	v_dual_mul_f32 v12, v177, v187 :: v_dual_fmac_f32 v57, v15, v184
	v_fmac_f32_e32 v59, v177, v186
	v_fmac_f32_e32 v61, v181, v172
	;; [unrolled: 1-line block ×3, first 2 shown]
	s_delay_alu instid0(VALU_DEP_4) | instskip(SKIP_1) | instid1(VALU_DEP_1)
	v_fma_f32 v58, v176, v186, -v12
	v_dual_mul_f32 v12, v181, v173 :: v_dual_sub_f32 v3, v32, v3
	v_fma_f32 v28, v180, v172, -v12
	v_mul_f32_e32 v12, v189, v175
	s_delay_alu instid0(VALU_DEP_1) | instskip(SKIP_1) | instid1(VALU_DEP_1)
	v_fma_f32 v62, v188, v174, -v12
	v_lshlrev_b32_e32 v12, 5, v217
	v_add_co_u32 v14, s2, s10, v12
	s_delay_alu instid0(VALU_DEP_1) | instskip(SKIP_1) | instid1(VALU_DEP_3)
	v_add_co_ci_u32_e64 v15, null, s11, 0, s2
	v_add_co_u32 v170, s2, s10, v168
	v_add_co_u32 v12, vcc_lo, 0x1000, v14
	s_delay_alu instid0(VALU_DEP_3) | instskip(SKIP_4) | instid1(VALU_DEP_3)
	v_add_co_ci_u32_e32 v13, vcc_lo, 0, v15, vcc_lo
	v_add_co_u32 v14, vcc_lo, 0x1758, v14
	v_add_co_ci_u32_e64 v171, null, s11, 0, s2
	v_add_co_ci_u32_e32 v15, vcc_lo, 0, v15, vcc_lo
	v_add_co_u32 v168, vcc_lo, 0x1000, v170
	v_add_co_ci_u32_e32 v169, vcc_lo, 0, v171, vcc_lo
	v_add_co_u32 v170, vcc_lo, 0x1758, v170
	v_add_co_ci_u32_e32 v171, vcc_lo, 0, v171, vcc_lo
	s_clause 0x3
	global_load_b128 v[188:191], v[12:13], off offset:1880
	global_load_b128 v[176:179], v[14:15], off offset:16
	;; [unrolled: 1-line block ×4, first 2 shown]
	ds_store_2addr_b64 v64, v[30:31], v[34:35] offset0:89 offset1:214
	v_sub_f32_e32 v30, v63, v61
	s_mul_i32 s2, s5, 0x2710
	s_delay_alu instid0(SALU_CYCLE_1)
	s_add_i32 s2, s3, s2
	s_mul_i32 s3, s4, 0x2710
	s_waitcnt vmcnt(3) lgkmcnt(10)
	v_mul_f32_e32 v13, v4, v189
	s_waitcnt vmcnt(1)
	v_mul_f32_e32 v15, v6, v181
	s_delay_alu instid0(VALU_DEP_2) | instskip(NEXT) | instid1(VALU_DEP_2)
	v_fmac_f32_e32 v13, v5, v188
	v_dual_fmac_f32 v15, v7, v180 :: v_dual_mul_f32 v12, v5, v189
	v_sub_f32_e32 v5, v230, v222
	s_delay_alu instid0(VALU_DEP_2) | instskip(SKIP_1) | instid1(VALU_DEP_1)
	v_fma_f32 v12, v4, v188, -v12
	v_mul_f32_e32 v4, v7, v181
	v_fma_f32 v14, v6, v180, -v4
	s_waitcnt lgkmcnt(9)
	v_mul_f32_e32 v4, v25, v191
	s_delay_alu instid0(VALU_DEP_1) | instskip(SKIP_2) | instid1(VALU_DEP_2)
	v_fma_f32 v217, v24, v190, -v4
	v_mul_f32_e32 v24, v24, v191
	v_mul_f32_e32 v4, v27, v183
	v_fmac_f32_e32 v24, v25, v190
	s_delay_alu instid0(VALU_DEP_2) | instskip(SKIP_1) | instid1(VALU_DEP_1)
	v_fma_f32 v25, v26, v182, -v4
	v_mul_f32_e32 v26, v26, v183
	v_fmac_f32_e32 v26, v27, v182
	s_waitcnt lgkmcnt(8)
	v_mul_f32_e32 v4, v17, v177
	s_delay_alu instid0(VALU_DEP_1) | instskip(SKIP_3) | instid1(VALU_DEP_2)
	v_fma_f32 v27, v16, v176, -v4
	v_mul_f32_e32 v16, v16, v177
	s_waitcnt vmcnt(0)
	v_mul_f32_e32 v4, v19, v169
	v_fmac_f32_e32 v16, v17, v176
	s_delay_alu instid0(VALU_DEP_2) | instskip(SKIP_3) | instid1(VALU_DEP_2)
	v_fma_f32 v17, v18, v168, -v4
	v_mul_f32_e32 v18, v18, v169
	s_waitcnt lgkmcnt(7)
	v_mul_f32_e32 v4, v21, v179
	v_fmac_f32_e32 v18, v19, v168
	s_delay_alu instid0(VALU_DEP_2) | instskip(SKIP_2) | instid1(VALU_DEP_3)
	v_fma_f32 v19, v20, v178, -v4
	v_mul_f32_e32 v20, v20, v179
	v_mul_f32_e32 v4, v23, v171
	v_dual_sub_f32 v2, v2, v33 :: v_dual_sub_f32 v31, v12, v19
	s_delay_alu instid0(VALU_DEP_3) | instskip(NEXT) | instid1(VALU_DEP_3)
	v_fmac_f32_e32 v20, v21, v178
	v_fma_f32 v21, v22, v170, -v4
	v_mul_f32_e32 v22, v22, v171
	s_delay_alu instid0(VALU_DEP_4) | instskip(SKIP_2) | instid1(VALU_DEP_4)
	v_dual_add_f32 v32, v3, v2 :: v_dual_sub_f32 v3, v41, v40
	v_sub_f32_e32 v4, v60, v56
	v_add_nc_u32_e32 v60, 0x1800, v209
	v_fmac_f32_e32 v22, v23, v170
	s_delay_alu instid0(VALU_DEP_3) | instskip(SKIP_1) | instid1(VALU_DEP_2)
	v_dual_sub_f32 v2, v38, v39 :: v_dual_add_f32 v23, v4, v5
	v_dual_sub_f32 v4, v43, v45 :: v_dual_sub_f32 v5, v44, v46
	v_dual_add_f32 v33, v2, v3 :: v_dual_add_f32 v2, v39, v40
	s_delay_alu instid0(VALU_DEP_2) | instskip(SKIP_1) | instid1(VALU_DEP_3)
	v_dual_add_f32 v3, v45, v46 :: v_dual_add_f32 v56, v4, v5
	v_fmamk_f32 v4, v49, 0x3f737871, v0
	v_fma_f32 v2, -0.5, v2, v8
	s_delay_alu instid0(VALU_DEP_3) | instskip(SKIP_1) | instid1(VALU_DEP_3)
	v_fma_f32 v3, -0.5, v3, v9
	v_dual_fmamk_f32 v5, v51, 0xbf737871, v1 :: v_dual_fmac_f32 v0, 0xbf737871, v49
	v_dual_fmac_f32 v1, 0x3f737871, v51 :: v_dual_fmamk_f32 v6, v53, 0x3f737871, v2
	s_delay_alu instid0(VALU_DEP_3) | instskip(SKIP_1) | instid1(VALU_DEP_4)
	v_dual_fmamk_f32 v7, v55, 0xbf737871, v3 :: v_dual_fmac_f32 v2, 0xbf737871, v53
	v_fmac_f32_e32 v3, 0x3f737871, v55
	v_fmac_f32_e32 v0, 0xbf167918, v48
	s_delay_alu instid0(VALU_DEP_4) | instskip(NEXT) | instid1(VALU_DEP_4)
	v_fmac_f32_e32 v1, 0x3f167918, v50
	v_dual_fmac_f32 v7, 0xbf167918, v54 :: v_dual_fmac_f32 v2, 0xbf167918, v52
	s_delay_alu instid0(VALU_DEP_4) | instskip(NEXT) | instid1(VALU_DEP_3)
	v_fmac_f32_e32 v3, 0x3f167918, v54
	v_dual_fmac_f32 v0, 0x3e9e377a, v23 :: v_dual_fmac_f32 v1, 0x3e9e377a, v32
	s_delay_alu instid0(VALU_DEP_3) | instskip(NEXT) | instid1(VALU_DEP_3)
	v_dual_fmac_f32 v7, 0x3e9e377a, v56 :: v_dual_fmac_f32 v2, 0x3e9e377a, v33
	v_fmac_f32_e32 v3, 0x3e9e377a, v56
	v_add_nc_u32_e32 v56, 0x6000, v209
	v_fmac_f32_e32 v4, 0x3f167918, v48
	v_fmac_f32_e32 v5, 0xbf167918, v50
	;; [unrolled: 1-line block ×3, first 2 shown]
	v_mov_b32_e32 v54, v203
	ds_store_2addr_b64 v56, v[0:1], v[2:3] offset0:53 offset1:178
	v_dual_add_f32 v0, v8, v38 :: v_dual_add_f32 v1, v9, v43
	v_add_f32_e32 v2, v10, v29
	v_dual_add_f32 v3, v11, v57 :: v_dual_fmac_f32 v4, 0x3e9e377a, v23
	s_delay_alu instid0(VALU_DEP_3) | instskip(NEXT) | instid1(VALU_DEP_2)
	v_dual_add_f32 v0, v0, v39 :: v_dual_add_f32 v1, v1, v45
	v_dual_add_f32 v2, v2, v58 :: v_dual_add_f32 v3, v3, v59
	v_fmac_f32_e32 v5, 0x3e9e377a, v32
	s_delay_alu instid0(VALU_DEP_3) | instskip(NEXT) | instid1(VALU_DEP_3)
	v_dual_add_f32 v0, v0, v40 :: v_dual_add_f32 v1, v1, v46
	v_dual_add_f32 v2, v2, v28 :: v_dual_add_f32 v3, v3, v61
	v_fmac_f32_e32 v6, 0x3e9e377a, v33
	s_delay_alu instid0(VALU_DEP_3) | instskip(NEXT) | instid1(VALU_DEP_3)
	v_dual_add_f32 v0, v0, v41 :: v_dual_add_f32 v1, v1, v44
	v_dual_add_f32 v2, v2, v62 :: v_dual_add_f32 v3, v3, v63
	ds_store_2addr_b64 v60, v[4:5], v[6:7] offset0:107 offset1:232
	v_dual_sub_f32 v4, v61, v63 :: v_dual_sub_f32 v7, v59, v61
	v_sub_f32_e32 v5, v57, v63
	ds_store_2addr_b64 v210, v[0:1], v[2:3] offset0:122 offset1:247
	v_dual_add_f32 v0, v58, v28 :: v_dual_add_f32 v1, v29, v62
	v_sub_f32_e32 v2, v28, v62
	v_dual_sub_f32 v8, v58, v28 :: v_dual_sub_f32 v23, v29, v62
	s_delay_alu instid0(VALU_DEP_3) | instskip(NEXT) | instid1(VALU_DEP_4)
	v_fma_f32 v0, -0.5, v0, v10
	v_fma_f32 v10, -0.5, v1, v10
	v_sub_f32_e32 v1, v58, v29
	v_dual_sub_f32 v9, v29, v58 :: v_dual_sub_f32 v28, v62, v28
	v_sub_f32_e32 v29, v57, v59
	v_sub_f32_e32 v32, v217, v27
	s_delay_alu instid0(VALU_DEP_4) | instskip(SKIP_4) | instid1(VALU_DEP_4)
	v_add_f32_e32 v3, v1, v2
	v_dual_add_f32 v1, v59, v61 :: v_dual_add_f32 v2, v57, v63
	v_sub_f32_e32 v39, v25, v17
	v_sub_f32_e32 v40, v14, v21
	v_mov_b32_e32 v82, v54
	v_fma_f32 v1, -0.5, v1, v11
	v_dual_fmac_f32 v11, -0.5, v2 :: v_dual_sub_f32 v2, v59, v57
	v_mov_b32_e32 v57, v78
	s_delay_alu instid0(VALU_DEP_2) | instskip(SKIP_4) | instid1(VALU_DEP_4)
	v_add_f32_e32 v6, v2, v4
	v_fmamk_f32 v2, v7, 0xbf737871, v10
	v_fmac_f32_e32 v10, 0x3f737871, v7
	v_fmamk_f32 v4, v5, 0x3f737871, v0
	v_fmac_f32_e32 v0, 0xbf737871, v5
	v_fmac_f32_e32 v2, 0x3f167918, v5
	s_delay_alu instid0(VALU_DEP_4)
	v_fmac_f32_e32 v10, 0xbf167918, v5
	v_fmamk_f32 v5, v23, 0xbf737871, v1
	v_fmac_f32_e32 v1, 0x3f737871, v23
	v_fmac_f32_e32 v0, 0xbf167918, v7
	;; [unrolled: 1-line block ×4, first 2 shown]
	v_fmamk_f32 v3, v8, 0x3f737871, v11
	v_fmac_f32_e32 v11, 0xbf737871, v8
	v_dual_fmac_f32 v1, 0x3f167918, v8 :: v_dual_fmac_f32 v4, 0x3f167918, v7
	v_fmac_f32_e32 v5, 0xbf167918, v8
	s_delay_alu instid0(VALU_DEP_4) | instskip(NEXT) | instid1(VALU_DEP_4)
	v_fmac_f32_e32 v3, 0xbf167918, v23
	v_fmac_f32_e32 v11, 0x3f167918, v23
	v_sub_f32_e32 v7, v18, v22
	s_delay_alu instid0(VALU_DEP_3) | instskip(NEXT) | instid1(VALU_DEP_3)
	v_fmac_f32_e32 v3, 0x3e9e377a, v6
	v_dual_fmac_f32 v11, 0x3e9e377a, v6 :: v_dual_add_f32 v6, v9, v28
	v_add_f32_e32 v9, v29, v30
	v_sub_f32_e32 v29, v13, v20
	v_sub_f32_e32 v30, v24, v16
	s_delay_alu instid0(VALU_DEP_3)
	v_dual_fmac_f32 v0, 0x3e9e377a, v6 :: v_dual_fmac_f32 v1, 0x3e9e377a, v9
	ds_store_b64 v209, v[10:11] offset:21000
	ds_store_b64 v209, v[2:3] offset:15000
	;; [unrolled: 1-line block ×3, first 2 shown]
	v_dual_sub_f32 v0, v12, v217 :: v_dual_sub_f32 v1, v19, v27
	v_sub_f32_e32 v2, v13, v24
	v_dual_sub_f32 v3, v20, v16 :: v_dual_fmac_f32 v4, 0x3e9e377a, v6
	v_fmac_f32_e32 v5, 0x3e9e377a, v9
	s_delay_alu instid0(VALU_DEP_4) | instskip(NEXT) | instid1(VALU_DEP_3)
	v_dual_add_f32 v23, v0, v1 :: v_dual_add_f32 v0, v217, v27
	v_dual_add_f32 v1, v24, v16 :: v_dual_add_f32 v28, v2, v3
	v_add_nc_u32_e32 v6, 0x2000, v209
	v_add_f32_e32 v10, v194, v14
	s_delay_alu instid0(VALU_DEP_4) | instskip(NEXT) | instid1(VALU_DEP_4)
	v_fma_f32 v0, -0.5, v0, v192
	v_fma_f32 v1, -0.5, v1, v193
	s_delay_alu instid0(VALU_DEP_4) | instskip(NEXT) | instid1(VALU_DEP_4)
	v_dual_add_f32 v11, v195, v15 :: v_dual_mov_b32 v58, v6
	v_add_f32_e32 v10, v10, v25
	s_delay_alu instid0(VALU_DEP_4) | instskip(NEXT) | instid1(VALU_DEP_4)
	v_fmamk_f32 v2, v29, 0x3f737871, v0
	v_dual_fmamk_f32 v3, v31, 0xbf737871, v1 :: v_dual_fmac_f32 v0, 0xbf737871, v29
	s_delay_alu instid0(VALU_DEP_3) | instskip(NEXT) | instid1(VALU_DEP_3)
	v_dual_fmac_f32 v1, 0x3f737871, v31 :: v_dual_add_f32 v10, v10, v17
	v_fmac_f32_e32 v2, 0x3f167918, v30
	s_delay_alu instid0(VALU_DEP_3) | instskip(NEXT) | instid1(VALU_DEP_3)
	v_dual_fmac_f32 v3, 0xbf167918, v32 :: v_dual_fmac_f32 v0, 0xbf167918, v30
	v_dual_fmac_f32 v1, 0x3f167918, v32 :: v_dual_add_f32 v10, v10, v21
	s_delay_alu instid0(VALU_DEP_2) | instskip(NEXT) | instid1(VALU_DEP_2)
	v_dual_fmac_f32 v2, 0x3e9e377a, v23 :: v_dual_fmac_f32 v3, 0x3e9e377a, v28
	v_dual_fmac_f32 v0, 0x3e9e377a, v23 :: v_dual_fmac_f32 v1, 0x3e9e377a, v28
	ds_store_2addr_b64 v6, v[4:5], v[2:3] offset0:101 offset1:226
	v_sub_f32_e32 v4, v24, v13
	v_sub_f32_e32 v5, v16, v20
	v_dual_sub_f32 v2, v217, v12 :: v_dual_sub_f32 v3, v27, v19
	v_sub_f32_e32 v6, v17, v21
	s_delay_alu instid0(VALU_DEP_3) | instskip(SKIP_4) | instid1(VALU_DEP_4)
	v_add_f32_e32 v34, v4, v5
	v_add_f32_e32 v4, v25, v17
	;; [unrolled: 1-line block ×4, first 2 shown]
	v_dual_add_f32 v3, v13, v20 :: v_dual_add_f32 v2, v12, v19
	v_fma_f32 v4, -0.5, v4, v194
	s_delay_alu instid0(VALU_DEP_4) | instskip(SKIP_1) | instid1(VALU_DEP_4)
	v_fma_f32 v194, -0.5, v5, v194
	v_sub_f32_e32 v5, v25, v14
	v_fma_f32 v3, -0.5, v3, v193
	v_fma_f32 v2, -0.5, v2, v192
	s_delay_alu instid0(VALU_DEP_3) | instskip(SKIP_2) | instid1(VALU_DEP_2)
	v_add_f32_e32 v35, v5, v6
	v_add_f32_e32 v5, v26, v18
	;; [unrolled: 1-line block ×3, first 2 shown]
	v_fma_f32 v5, -0.5, v5, v195
	s_delay_alu instid0(VALU_DEP_2) | instskip(NEXT) | instid1(VALU_DEP_1)
	v_dual_fmac_f32 v195, -0.5, v6 :: v_dual_sub_f32 v6, v26, v15
	v_dual_fmamk_f32 v9, v39, 0x3f737871, v195 :: v_dual_add_f32 v36, v6, v7
	v_fmamk_f32 v7, v32, 0x3f737871, v3
	v_dual_fmac_f32 v3, 0xbf737871, v32 :: v_dual_fmamk_f32 v6, v30, 0xbf737871, v2
	v_fmac_f32_e32 v2, 0x3f737871, v30
	v_fmac_f32_e32 v195, 0xbf737871, v39
	s_delay_alu instid0(VALU_DEP_4) | instskip(NEXT) | instid1(VALU_DEP_4)
	v_fmac_f32_e32 v7, 0xbf167918, v31
	v_fmac_f32_e32 v3, 0x3f167918, v31
	v_sub_f32_e32 v37, v26, v18
	v_sub_f32_e32 v38, v15, v22
	v_fmac_f32_e32 v2, 0xbf167918, v29
	v_fmac_f32_e32 v195, 0x3f167918, v40
	;; [unrolled: 1-line block ×3, first 2 shown]
	v_fmamk_f32 v8, v37, 0xbf737871, v194
	v_fmac_f32_e32 v194, 0x3f737871, v37
	s_delay_alu instid0(VALU_DEP_4) | instskip(SKIP_1) | instid1(VALU_DEP_3)
	v_dual_fmac_f32 v2, 0x3e9e377a, v33 :: v_dual_fmac_f32 v195, 0x3e9e377a, v36
	v_dual_add_f32 v11, v11, v26 :: v_dual_fmac_f32 v6, 0x3f167918, v29
	v_fmac_f32_e32 v194, 0xbf167918, v38
	v_fmac_f32_e32 v8, 0x3f167918, v38
	;; [unrolled: 1-line block ×3, first 2 shown]
	s_delay_alu instid0(VALU_DEP_4) | instskip(NEXT) | instid1(VALU_DEP_4)
	v_dual_fmac_f32 v7, 0x3e9e377a, v34 :: v_dual_fmac_f32 v6, 0x3e9e377a, v33
	v_fmac_f32_e32 v194, 0x3e9e377a, v35
	s_delay_alu instid0(VALU_DEP_3)
	v_dual_fmac_f32 v8, 0x3e9e377a, v35 :: v_dual_fmac_f32 v9, 0x3e9e377a, v36
	ds_store_2addr_b64 v200, v[2:3], v[194:195] offset0:62 offset1:187
	v_dual_add_f32 v2, v192, v12 :: v_dual_add_f32 v3, v193, v13
	v_add_f32_e32 v11, v11, v18
	ds_store_2addr_b64 v202, v[6:7], v[8:9] offset0:80 offset1:205
	v_sub_f32_e32 v6, v14, v25
	v_dual_add_f32 v2, v2, v217 :: v_dual_add_f32 v3, v3, v24
	v_add_f32_e32 v11, v11, v22
	v_dual_sub_f32 v7, v21, v17 :: v_dual_sub_f32 v8, v15, v26
	s_delay_alu instid0(VALU_DEP_3) | instskip(SKIP_1) | instid1(VALU_DEP_3)
	v_dual_add_f32 v2, v2, v27 :: v_dual_add_f32 v3, v3, v16
	v_sub_f32_e32 v9, v22, v18
	v_add_f32_e32 v6, v6, v7
	s_delay_alu instid0(VALU_DEP_3) | instskip(NEXT) | instid1(VALU_DEP_3)
	v_dual_add_f32 v2, v2, v19 :: v_dual_add_f32 v3, v3, v20
	v_add_f32_e32 v7, v8, v9
	ds_store_2addr_b64 v73, v[2:3], v[10:11] offset0:116 offset1:241
	v_fmamk_f32 v2, v38, 0x3f737871, v4
	v_dual_fmac_f32 v4, 0xbf737871, v38 :: v_dual_fmamk_f32 v3, v40, 0xbf737871, v5
	v_fmac_f32_e32 v5, 0x3f737871, v40
	s_delay_alu instid0(VALU_DEP_3) | instskip(NEXT) | instid1(VALU_DEP_3)
	v_fmac_f32_e32 v2, 0x3f167918, v37
	v_dual_fmac_f32 v4, 0xbf167918, v37 :: v_dual_fmac_f32 v3, 0xbf167918, v39
	s_delay_alu instid0(VALU_DEP_3) | instskip(NEXT) | instid1(VALU_DEP_3)
	v_fmac_f32_e32 v5, 0x3f167918, v39
	v_fmac_f32_e32 v2, 0x3e9e377a, v6
	s_delay_alu instid0(VALU_DEP_3) | instskip(NEXT) | instid1(VALU_DEP_3)
	v_dual_fmac_f32 v4, 0x3e9e377a, v6 :: v_dual_fmac_f32 v3, 0x3e9e377a, v7
	v_fmac_f32_e32 v5, 0x3e9e377a, v7
	v_add_co_u32 v6, vcc_lo, 0x7530, v204
	v_add_co_ci_u32_e32 v7, vcc_lo, 0, v205, vcc_lo
	ds_store_2addr_b64 v201, v[0:1], v[4:5] offset0:44 offset1:169
	ds_store_b64 v209, v[2:3] offset:11000
	s_waitcnt lgkmcnt(0)
	s_waitcnt_vscnt null, 0x0
	s_barrier
	buffer_gl0_inv
	s_clause 0x3
	global_load_b64 v[4:5], v[239:240], off offset:1328
	global_load_b64 v[8:9], v[6:7], off offset:1000
	;; [unrolled: 1-line block ×4, first 2 shown]
	ds_load_2addr_b64 v[0:3], v209 offset1:125
	s_waitcnt vmcnt(2) lgkmcnt(0)
	v_mul_f32_e32 v53, v2, v9
	v_mul_f32_e32 v14, v1, v5
	;; [unrolled: 1-line block ×3, first 2 shown]
	s_delay_alu instid0(VALU_DEP_3) | instskip(NEXT) | instid1(VALU_DEP_3)
	v_fmac_f32_e32 v53, v3, v8
	v_fma_f32 v14, v0, v4, -v14
	s_delay_alu instid0(VALU_DEP_3) | instskip(SKIP_1) | instid1(VALU_DEP_2)
	v_dual_mul_f32 v0, v3, v9 :: v_dual_fmac_f32 v15, v1, v4
	v_dual_mov_b32 v75, v60 :: v_dual_mov_b32 v60, v77
	v_fma_f32 v52, v2, v8, -v0
	v_add_co_u32 v8, vcc_lo, 0x9000, v204
	v_add_co_ci_u32_e32 v9, vcc_lo, 0, v205, vcc_lo
	ds_store_b64 v209, v[14:15]
	v_add_co_u32 v14, vcc_lo, 0xc000, v204
	v_add_co_ci_u32_e32 v15, vcc_lo, 0, v205, vcc_lo
	s_clause 0x3
	global_load_b64 v[16:17], v[8:9], off offset:3136
	global_load_b64 v[18:19], v[14:15], off offset:848
	global_load_b64 v[20:21], v[14:15], off offset:1848
	global_load_b64 v[22:23], v[14:15], off offset:2848
	ds_load_2addr_b64 v[0:3], v68 offset0:98 offset1:223
	s_waitcnt vmcnt(3) lgkmcnt(0)
	v_mul_f32_e32 v4, v1, v17
	v_mul_f32_e32 v49, v0, v17
	s_delay_alu instid0(VALU_DEP_2) | instskip(NEXT) | instid1(VALU_DEP_2)
	v_fma_f32 v48, v0, v16, -v4
	v_fmac_f32_e32 v49, v1, v16
	v_add_co_u32 v16, vcc_lo, 0xa000, v204
	v_add_co_ci_u32_e32 v17, vcc_lo, 0, v205, vcc_lo
	s_clause 0x3
	global_load_b64 v[26:27], v[16:17], off offset:1040
	global_load_b64 v[28:29], v[16:17], off offset:2040
	;; [unrolled: 1-line block ×4, first 2 shown]
	s_waitcnt vmcnt(0)
	v_mul_f32_e32 v4, v3, v1
	v_mul_f32_e32 v41, v2, v1
	s_delay_alu instid0(VALU_DEP_2) | instskip(NEXT) | instid1(VALU_DEP_2)
	v_fma_f32 v40, v2, v0, -v4
	v_fmac_f32_e32 v41, v3, v0
	ds_load_2addr_b64 v[0:3], v203 offset0:68 offset1:193
	s_waitcnt lgkmcnt(0)
	v_dual_mov_b32 v203, v206 :: v_dual_mul_f32 v4, v1, v19
	v_mul_f32_e32 v45, v0, v19
	v_mul_f32_e32 v33, v2, v21
	s_delay_alu instid0(VALU_DEP_3) | instskip(NEXT) | instid1(VALU_DEP_3)
	v_fma_f32 v44, v0, v18, -v4
	v_dual_mul_f32 v0, v3, v21 :: v_dual_fmac_f32 v45, v1, v18
	s_delay_alu instid0(VALU_DEP_3) | instskip(NEXT) | instid1(VALU_DEP_2)
	v_fmac_f32_e32 v33, v3, v20
	v_fma_f32 v32, v2, v20, -v0
	ds_load_2addr_b64 v[0:3], v210 offset0:122 offset1:247
	s_waitcnt lgkmcnt(0)
	v_mul_f32_e32 v4, v1, v11
	v_mul_f32_e32 v37, v0, v11
	v_mul_f32_e32 v31, v2, v13
	s_delay_alu instid0(VALU_DEP_3) | instskip(NEXT) | instid1(VALU_DEP_3)
	v_fma_f32 v36, v0, v10, -v4
	v_dual_mul_f32 v0, v3, v13 :: v_dual_fmac_f32 v37, v1, v10
	s_delay_alu instid0(VALU_DEP_3) | instskip(NEXT) | instid1(VALU_DEP_2)
	v_fmac_f32_e32 v31, v3, v12
	v_fma_f32 v30, v2, v12, -v0
	ds_load_2addr_b64 v[0:3], v78 offset0:92 offset1:217
	s_waitcnt lgkmcnt(0)
	v_mul_f32_e32 v4, v1, v27
	;; [unrolled: 11-line block ×3, first 2 shown]
	v_mul_f32_e32 v29, v0, v23
	v_mul_f32_e32 v23, v2, v15
	s_delay_alu instid0(VALU_DEP_3) | instskip(NEXT) | instid1(VALU_DEP_3)
	v_fma_f32 v28, v0, v22, -v4
	v_dual_mul_f32 v0, v3, v15 :: v_dual_fmac_f32 v29, v1, v22
	s_delay_alu instid0(VALU_DEP_3) | instskip(NEXT) | instid1(VALU_DEP_2)
	v_fmac_f32_e32 v23, v3, v14
	v_fma_f32 v22, v2, v14, -v0
	s_clause 0x3
	global_load_b64 v[6:7], v[6:7], off offset:4000
	global_load_b64 v[14:15], v[8:9], off offset:136
	;; [unrolled: 1-line block ×4, first 2 shown]
	ds_load_2addr_b64 v[0:3], v73 offset0:116 offset1:241
	s_waitcnt vmcnt(3) lgkmcnt(0)
	v_mul_f32_e32 v4, v1, v7
	v_mul_f32_e32 v193, v0, v7
	s_delay_alu instid0(VALU_DEP_2) | instskip(SKIP_1) | instid1(VALU_DEP_3)
	v_fma_f32 v192, v0, v6, -v4
	v_add_co_u32 v0, vcc_lo, 0x8000, v204
	v_fmac_f32_e32 v193, v1, v6
	v_add_co_ci_u32_e32 v1, vcc_lo, 0, v205, vcc_lo
	v_add_co_u32 v8, vcc_lo, 0xd000, v204
	v_add_co_ci_u32_e32 v9, vcc_lo, 0, v205, vcc_lo
	s_clause 0x2
	global_load_b64 v[194:195], v[0:1], off offset:2232
	global_load_b64 v[229:230], v[0:1], off offset:3232
	;; [unrolled: 1-line block ×3, first 2 shown]
	s_waitcnt vmcnt(2)
	v_mul_f32_e32 v0, v3, v195
	v_mul_f32_e32 v21, v2, v195
	s_delay_alu instid0(VALU_DEP_2) | instskip(NEXT) | instid1(VALU_DEP_2)
	v_fma_f32 v20, v2, v194, -v0
	v_fmac_f32_e32 v21, v3, v194
	s_clause 0x3
	global_load_b64 v[38:39], v[16:17], off offset:3040
	global_load_b64 v[16:17], v[16:17], off offset:4040
	;; [unrolled: 1-line block ×4, first 2 shown]
	ds_load_2addr_b64 v[0:3], v80 offset0:86 offset1:211
	s_waitcnt vmcnt(3) lgkmcnt(0)
	v_mul_f32_e32 v6, v1, v39
	v_mul_f32_e32 v43, v0, v39
	s_waitcnt vmcnt(2)
	v_mul_f32_e32 v39, v2, v17
	s_delay_alu instid0(VALU_DEP_3) | instskip(NEXT) | instid1(VALU_DEP_3)
	v_fma_f32 v42, v0, v38, -v6
	v_dual_mul_f32 v0, v3, v17 :: v_dual_fmac_f32 v43, v1, v38
	s_delay_alu instid0(VALU_DEP_3) | instskip(NEXT) | instid1(VALU_DEP_2)
	v_fmac_f32_e32 v39, v3, v16
	v_fma_f32 v38, v2, v16, -v0
	ds_load_2addr_b64 v[0:3], v77 offset0:56 offset1:181
	s_waitcnt vmcnt(1) lgkmcnt(0)
	v_mul_f32_e32 v6, v1, v195
	v_mul_f32_e32 v19, v0, v195
	s_waitcnt vmcnt(0)
	v_mul_f32_e32 v195, v2, v5
	s_delay_alu instid0(VALU_DEP_3) | instskip(NEXT) | instid1(VALU_DEP_3)
	v_fma_f32 v18, v0, v194, -v6
	v_dual_mul_f32 v0, v3, v5 :: v_dual_fmac_f32 v19, v1, v194
	s_delay_alu instid0(VALU_DEP_3) | instskip(NEXT) | instid1(VALU_DEP_2)
	v_fmac_f32_e32 v195, v3, v4
	v_fma_f32 v194, v2, v4, -v0
	ds_load_2addr_b64 v[0:3], v76 offset0:110 offset1:235
	s_waitcnt lgkmcnt(0)
	v_mul_f32_e32 v4, v1, v230
	v_dual_mul_f32 v17, v0, v230 :: v_dual_mul_f32 v230, v2, v15
	s_delay_alu instid0(VALU_DEP_2) | instskip(NEXT) | instid1(VALU_DEP_2)
	v_fma_f32 v16, v0, v229, -v4
	v_dual_mul_f32 v0, v3, v15 :: v_dual_fmac_f32 v17, v1, v229
	s_delay_alu instid0(VALU_DEP_3) | instskip(NEXT) | instid1(VALU_DEP_2)
	v_fmac_f32_e32 v230, v3, v14
	v_fma_f32 v229, v2, v14, -v0
	v_add_co_u32 v0, vcc_lo, 0xb000, v204
	v_add_co_ci_u32_e32 v1, vcc_lo, 0, v205, vcc_lo
	s_clause 0x3
	global_load_b64 v[14:15], v[0:1], off offset:944
	global_load_b64 v[4:5], v[0:1], off offset:1944
	global_load_b64 v[46:47], v[0:1], off offset:2944
	global_load_b64 v[6:7], v[0:1], off offset:3944
	ds_load_2addr_b64 v[0:3], v202 offset0:80 offset1:205
	s_waitcnt vmcnt(3) lgkmcnt(0)
	v_mul_f32_e32 v10, v1, v15
	v_mul_f32_e32 v51, v0, v15
	s_waitcnt vmcnt(2)
	v_mul_f32_e32 v15, v2, v5
	s_delay_alu instid0(VALU_DEP_3) | instskip(NEXT) | instid1(VALU_DEP_3)
	v_fma_f32 v50, v0, v14, -v10
	v_dual_mul_f32 v0, v3, v5 :: v_dual_fmac_f32 v51, v1, v14
	s_delay_alu instid0(VALU_DEP_3) | instskip(NEXT) | instid1(VALU_DEP_2)
	v_fmac_f32_e32 v15, v3, v4
	v_fma_f32 v14, v2, v4, -v0
	global_load_b64 v[4:5], v[8:9], off offset:2752
	ds_load_2addr_b64 v[0:3], v206 offset0:50 offset1:175
	s_waitcnt lgkmcnt(0)
	v_dual_mov_b32 v206, v73 :: v_dual_mul_f32 v9, v2, v240
	s_waitcnt vmcnt(0)
	s_delay_alu instid0(VALU_DEP_1) | instskip(SKIP_1) | instid1(VALU_DEP_2)
	v_dual_fmac_f32 v9, v3, v239 :: v_dual_mul_f32 v8, v1, v5
	v_mul_f32_e32 v11, v0, v5
	v_fma_f32 v10, v0, v4, -v8
	v_mul_f32_e32 v0, v3, v240
	s_delay_alu instid0(VALU_DEP_3) | instskip(NEXT) | instid1(VALU_DEP_2)
	v_fmac_f32_e32 v11, v1, v4
	v_fma_f32 v8, v2, v239, -v0
	ds_load_2addr_b64 v[0:3], v69 offset0:104 offset1:229
	s_waitcnt lgkmcnt(0)
	v_mul_f32_e32 v4, v1, v35
	v_dual_mul_f32 v240, v0, v35 :: v_dual_mul_f32 v35, v2, v13
	s_delay_alu instid0(VALU_DEP_2) | instskip(SKIP_1) | instid1(VALU_DEP_3)
	v_fma_f32 v239, v0, v34, -v4
	v_mul_f32_e32 v0, v3, v13
	v_dual_fmac_f32 v240, v1, v34 :: v_dual_fmac_f32 v35, v3, v12
	s_delay_alu instid0(VALU_DEP_2)
	v_fma_f32 v34, v2, v12, -v0
	ds_load_2addr_b64 v[0:3], v74 offset0:74 offset1:199
	s_waitcnt lgkmcnt(0)
	v_mul_f32_e32 v4, v1, v47
	v_mul_f32_e32 v13, v0, v47
	;; [unrolled: 1-line block ×3, first 2 shown]
	s_delay_alu instid0(VALU_DEP_3) | instskip(NEXT) | instid1(VALU_DEP_3)
	v_fma_f32 v12, v0, v46, -v4
	v_dual_mul_f32 v0, v3, v7 :: v_dual_fmac_f32 v13, v1, v46
	s_delay_alu instid0(VALU_DEP_3) | instskip(NEXT) | instid1(VALU_DEP_2)
	v_fmac_f32_e32 v47, v3, v6
	v_fma_f32 v46, v2, v6, -v0
	v_add_co_u32 v0, vcc_lo, 0xe000, v204
	v_add_co_ci_u32_e32 v1, vcc_lo, 0, v205, vcc_lo
	s_clause 0x1
	global_load_b64 v[6:7], v[0:1], off offset:656
	global_load_b64 v[204:205], v[0:1], off offset:1656
	ds_load_2addr_b64 v[0:3], v201 offset0:44 offset1:169
	s_waitcnt vmcnt(1) lgkmcnt(0)
	v_mul_f32_e32 v4, v1, v7
	v_mul_f32_e32 v5, v0, v7
	s_delay_alu instid0(VALU_DEP_2) | instskip(SKIP_1) | instid1(VALU_DEP_2)
	v_fma_f32 v4, v0, v6, -v4
	s_waitcnt vmcnt(0)
	v_dual_mul_f32 v0, v3, v205 :: v_dual_fmac_f32 v5, v1, v6
	v_mul_f32_e32 v1, v2, v205
	s_delay_alu instid0(VALU_DEP_2) | instskip(NEXT) | instid1(VALU_DEP_2)
	v_fma_f32 v0, v2, v204, -v0
	v_dual_fmac_f32 v1, v3, v204 :: v_dual_add_nc_u32 v2, 0x2800, v209
	ds_store_2addr_b64 v2, v[40:41], v[24:25] offset0:95 offset1:220
	v_add_nc_u32_e32 v2, 0x5000, v209
	ds_store_2addr_b64 v2, v[32:33], v[28:29] offset0:65 offset1:190
	v_add_nc_u32_e32 v2, 0x800, v209
	;; [unrolled: 2-line block ×7, first 2 shown]
	ds_store_2addr_b64 v2, v[8:9], v[4:5] offset0:47 offset1:172
	ds_store_2addr_b64 v209, v[52:53], v[36:37] offset0:125 offset1:250
	;; [unrolled: 1-line block ×7, first 2 shown]
	ds_store_b64 v209, v[0:1] offset:29000
	s_waitcnt lgkmcnt(0)
	s_barrier
	buffer_gl0_inv
	ds_load_2addr_b64 v[0:3], v209 offset1:125
	ds_load_2addr_b64 v[4:7], v68 offset0:98 offset1:223
	ds_load_2addr_b64 v[8:11], v54 offset0:68 offset1:193
	v_mov_b32_e32 v52, v57
	v_mov_b32_e32 v64, v74
	s_waitcnt lgkmcnt(1)
	v_add_f32_e32 v12, v0, v4
	s_waitcnt lgkmcnt(0)
	v_dual_add_f32 v56, v4, v8 :: v_dual_sub_f32 v45, v5, v9
	v_add_f32_e32 v13, v1, v5
	v_dual_add_f32 v50, v5, v9 :: v_dual_sub_f32 v47, v4, v8
	v_dual_add_f32 v4, v2, v6 :: v_dual_add_f32 v5, v3, v7
	v_dual_add_f32 v77, v6, v10 :: v_dual_sub_f32 v44, v7, v11
	v_dual_add_f32 v68, v7, v11 :: v_dual_sub_f32 v51, v6, v10
	v_dual_add_f32 v48, v12, v8 :: v_dual_add_f32 v49, v13, v9
	s_delay_alu instid0(VALU_DEP_4)
	v_dual_add_f32 v30, v4, v10 :: v_dual_add_f32 v31, v5, v11
	ds_load_2addr_b64 v[4:7], v210 offset0:122 offset1:247
	ds_load_2addr_b64 v[8:11], v57 offset0:92 offset1:217
	;; [unrolled: 1-line block ×3, first 2 shown]
	v_mov_b32_e32 v200, v60
	v_fma_f32 v0, -0.5, v56, v0
	v_fma_f32 v1, -0.5, v50, v1
	;; [unrolled: 1-line block ×3, first 2 shown]
	v_fmac_f32_e32 v3, -0.5, v68
	s_waitcnt lgkmcnt(1)
	v_add_f32_e32 v16, v4, v8
	s_waitcnt lgkmcnt(0)
	v_dual_add_f32 v72, v8, v12 :: v_dual_sub_f32 v53, v9, v13
	v_add_f32_e32 v17, v5, v9
	v_dual_add_f32 v54, v9, v13 :: v_dual_sub_f32 v55, v8, v12
	v_dual_add_f32 v8, v6, v10 :: v_dual_add_f32 v9, v7, v11
	v_dual_add_f32 v76, v10, v14 :: v_dual_sub_f32 v57, v11, v15
	v_dual_add_f32 v58, v11, v15 :: v_dual_sub_f32 v59, v10, v14
	v_dual_add_f32 v32, v16, v12 :: v_dual_add_f32 v33, v17, v13
	s_delay_alu instid0(VALU_DEP_4)
	v_dual_add_f32 v34, v8, v14 :: v_dual_add_f32 v35, v9, v15
	ds_load_2addr_b64 v[8:11], v73 offset0:116 offset1:241
	ds_load_2addr_b64 v[12:15], v80 offset0:86 offset1:211
	;; [unrolled: 1-line block ×3, first 2 shown]
	v_fma_f32 v6, -0.5, v76, v6
	s_waitcnt lgkmcnt(1)
	v_dual_fmac_f32 v7, -0.5, v58 :: v_dual_add_f32 v20, v8, v12
	s_waitcnt lgkmcnt(0)
	v_dual_add_f32 v60, v12, v16 :: v_dual_sub_f32 v61, v13, v17
	v_add_f32_e32 v21, v9, v13
	v_dual_add_f32 v62, v13, v17 :: v_dual_sub_f32 v63, v12, v16
	v_dual_add_f32 v12, v10, v14 :: v_dual_add_f32 v13, v11, v15
	v_dual_add_f32 v192, v14, v18 :: v_dual_sub_f32 v193, v15, v19
	v_dual_add_f32 v194, v15, v19 :: v_dual_sub_f32 v195, v14, v18
	v_dual_add_f32 v36, v20, v16 :: v_dual_add_f32 v37, v21, v17
	s_delay_alu instid0(VALU_DEP_4)
	v_dual_add_f32 v38, v12, v18 :: v_dual_add_f32 v39, v13, v19
	ds_load_2addr_b64 v[12:15], v70 offset0:110 offset1:235
	ds_load_2addr_b64 v[16:19], v202 offset0:80 offset1:205
	;; [unrolled: 1-line block ×3, first 2 shown]
	v_fma_f32 v10, -0.5, v192, v10
	s_waitcnt lgkmcnt(1)
	v_dual_fmac_f32 v11, -0.5, v194 :: v_dual_add_f32 v24, v12, v16
	s_waitcnt lgkmcnt(0)
	v_dual_add_f32 v204, v16, v20 :: v_dual_sub_f32 v205, v17, v21
	v_add_f32_e32 v25, v13, v17
	v_dual_add_f32 v217, v17, v21 :: v_dual_sub_f32 v222, v16, v20
	v_dual_add_f32 v16, v14, v18 :: v_dual_add_f32 v17, v15, v19
	v_dual_add_f32 v229, v18, v22 :: v_dual_sub_f32 v230, v19, v23
	v_dual_add_f32 v239, v19, v23 :: v_dual_sub_f32 v240, v18, v22
	v_dual_add_f32 v40, v24, v20 :: v_dual_add_f32 v41, v25, v21
	s_delay_alu instid0(VALU_DEP_4)
	v_dual_add_f32 v42, v16, v22 :: v_dual_add_f32 v43, v17, v23
	ds_load_2addr_b64 v[16:19], v69 offset0:104 offset1:229
	ds_load_2addr_b64 v[20:23], v74 offset0:74 offset1:199
	;; [unrolled: 1-line block ×3, first 2 shown]
	s_waitcnt lgkmcnt(0)
	s_barrier
	buffer_gl0_inv
	v_dual_fmac_f32 v15, -0.5, v239 :: v_dual_mov_b32 v78, v69
	v_fma_f32 v14, -0.5, v229, v14
	v_dual_mov_b32 v239, v80 :: v_dual_add_f32 v70, v18, v22
	v_add_f32_e32 v71, v22, v26
	v_dual_sub_f32 v75, v22, v26 :: v_dual_add_f32 v28, v16, v20
	s_delay_alu instid0(VALU_DEP_3)
	v_dual_add_f32 v67, v17, v21 :: v_dual_add_f32 v22, v70, v26
	scratch_load_b32 v26, off, off offset:248 ; 4-byte Folded Reload
	v_dual_add_f32 v65, v20, v24 :: v_dual_sub_f32 v66, v21, v25
	v_dual_add_f32 v46, v21, v25 :: v_dual_sub_f32 v69, v20, v24
	v_dual_add_f32 v20, v28, v24 :: v_dual_add_f32 v21, v67, v25
	v_fmamk_f32 v24, v45, 0xbf5db3d7, v0
	v_dual_fmamk_f32 v25, v47, 0x3f5db3d7, v1 :: v_dual_fmac_f32 v0, 0x3f5db3d7, v45
	v_fmac_f32_e32 v1, 0xbf5db3d7, v47
	s_waitcnt vmcnt(0)
	ds_store_2addr_b64 v26, v[48:49], v[24:25] offset1:1
	ds_store_b64 v26, v[0:1] offset:16
	scratch_load_b32 v24, off, off offset:244 ; 4-byte Folded Reload
	v_fmamk_f32 v0, v44, 0xbf5db3d7, v2
	v_dual_fmamk_f32 v1, v51, 0x3f5db3d7, v3 :: v_dual_fmac_f32 v2, 0x3f5db3d7, v44
	v_fmac_f32_e32 v3, 0xbf5db3d7, v51
	s_waitcnt vmcnt(0)
	ds_store_2addr_b64 v24, v[30:31], v[0:1] offset1:1
	ds_store_b64 v24, v[2:3] offset:16
	v_fma_f32 v0, -0.5, v72, v4
	scratch_load_b32 v4, off, off offset:252 ; 4-byte Folded Reload
	v_fma_f32 v1, -0.5, v54, v5
	v_add_f32_e32 v74, v23, v27
	v_dual_sub_f32 v29, v23, v27 :: v_dual_fmamk_f32 v2, v53, 0xbf5db3d7, v0
	s_delay_alu instid0(VALU_DEP_3)
	v_dual_fmac_f32 v0, 0x3f5db3d7, v53 :: v_dual_fmamk_f32 v3, v55, 0x3f5db3d7, v1
	v_fmac_f32_e32 v1, 0xbf5db3d7, v55
	s_waitcnt vmcnt(0)
	ds_store_2addr_b64 v4, v[32:33], v[2:3] offset1:1
	ds_store_b64 v4, v[0:1] offset:16
	scratch_load_b32 v2, off, off offset:260 ; 4-byte Folded Reload
	v_fmamk_f32 v0, v57, 0xbf5db3d7, v6
	v_dual_fmamk_f32 v1, v59, 0x3f5db3d7, v7 :: v_dual_fmac_f32 v6, 0x3f5db3d7, v57
	v_fmac_f32_e32 v7, 0xbf5db3d7, v59
	s_waitcnt vmcnt(0)
	ds_store_2addr_b64 v2, v[34:35], v[0:1] offset1:1
	ds_store_b64 v2, v[6:7] offset:16
	scratch_load_b32 v4, off, off offset:256 ; 4-byte Folded Reload
	v_fma_f32 v0, -0.5, v60, v8
	v_fma_f32 v1, -0.5, v62, v9
	v_add_f32_e32 v73, v19, v23
	v_fma_f32 v18, -0.5, v71, v18
	s_delay_alu instid0(VALU_DEP_4) | instskip(NEXT) | instid1(VALU_DEP_4)
	v_dual_fmac_f32 v19, -0.5, v74 :: v_dual_fmamk_f32 v2, v61, 0xbf5db3d7, v0
	v_dual_fmamk_f32 v3, v63, 0x3f5db3d7, v1 :: v_dual_fmac_f32 v0, 0x3f5db3d7, v61
	v_fmac_f32_e32 v1, 0xbf5db3d7, v63
	s_waitcnt vmcnt(0)
	ds_store_2addr_b64 v4, v[36:37], v[2:3] offset1:1
	ds_store_b64 v4, v[0:1] offset:16
	scratch_load_b32 v2, off, off offset:264 ; 4-byte Folded Reload
	v_fmamk_f32 v0, v193, 0xbf5db3d7, v10
	v_dual_fmamk_f32 v1, v195, 0x3f5db3d7, v11 :: v_dual_fmac_f32 v10, 0x3f5db3d7, v193
	v_fmac_f32_e32 v11, 0xbf5db3d7, v195
	s_waitcnt vmcnt(0)
	ds_store_2addr_b64 v2, v[38:39], v[0:1] offset1:1
	ds_store_b64 v2, v[10:11] offset:16
	scratch_load_b32 v4, off, off offset:268 ; 4-byte Folded Reload
	v_fma_f32 v0, -0.5, v204, v12
	v_fma_f32 v1, -0.5, v217, v13
	v_add_f32_e32 v23, v73, v27
	s_delay_alu instid0(VALU_DEP_3) | instskip(NEXT) | instid1(VALU_DEP_3)
	v_fmamk_f32 v2, v205, 0xbf5db3d7, v0
	v_dual_fmamk_f32 v3, v222, 0x3f5db3d7, v1 :: v_dual_fmac_f32 v0, 0x3f5db3d7, v205
	v_fmac_f32_e32 v1, 0xbf5db3d7, v222
	s_waitcnt vmcnt(0)
	ds_store_2addr_b64 v4, v[40:41], v[2:3] offset1:1
	ds_store_b64 v4, v[0:1] offset:16
	scratch_load_b32 v2, off, off offset:272 ; 4-byte Folded Reload
	v_fmamk_f32 v0, v230, 0xbf5db3d7, v14
	v_dual_fmamk_f32 v1, v240, 0x3f5db3d7, v15 :: v_dual_fmac_f32 v14, 0x3f5db3d7, v230
	v_fmac_f32_e32 v15, 0xbf5db3d7, v240
	s_waitcnt vmcnt(0)
	ds_store_2addr_b64 v2, v[42:43], v[0:1] offset1:1
	ds_store_b64 v2, v[14:15] offset:16
	scratch_load_b32 v4, off, off offset:276 ; 4-byte Folded Reload
	v_fma_f32 v0, -0.5, v65, v16
	v_fma_f32 v1, -0.5, v46, v17
	v_mov_b32_e32 v230, v200
	s_delay_alu instid0(VALU_DEP_3) | instskip(NEXT) | instid1(VALU_DEP_3)
	v_fmamk_f32 v2, v66, 0xbf5db3d7, v0
	v_dual_fmamk_f32 v3, v69, 0x3f5db3d7, v1 :: v_dual_fmac_f32 v0, 0x3f5db3d7, v66
	v_fmac_f32_e32 v1, 0xbf5db3d7, v69
	s_waitcnt vmcnt(0)
	ds_store_2addr_b64 v4, v[20:21], v[2:3] offset1:1
	ds_store_b64 v4, v[0:1] offset:16
	scratch_load_b32 v2, off, off offset:280 ; 4-byte Folded Reload
	v_fmamk_f32 v0, v29, 0xbf5db3d7, v18
	v_dual_fmamk_f32 v1, v75, 0x3f5db3d7, v19 :: v_dual_fmac_f32 v18, 0x3f5db3d7, v29
	v_fmac_f32_e32 v19, 0xbf5db3d7, v75
	s_waitcnt vmcnt(0)
	ds_store_2addr_b64 v2, v[22:23], v[0:1] offset1:1
	ds_store_b64 v2, v[18:19] offset:16
	s_waitcnt lgkmcnt(0)
	s_barrier
	buffer_gl0_inv
	ds_load_2addr_b64 v[0:3], v81 offset0:110 offset1:235
	ds_load_2addr_b64 v[4:7], v52 offset0:92 offset1:217
	v_mov_b32_e32 v29, v203
	s_delay_alu instid0(VALU_DEP_1) | instskip(SKIP_2) | instid1(VALU_DEP_1)
	v_mov_b32_e32 v33, v29
	s_waitcnt lgkmcnt(1)
	v_dual_mul_f32 v217, v212, v1 :: v_dual_mul_f32 v204, v197, v3
	v_fmac_f32_e32 v217, v211, v0
	v_mul_f32_e32 v0, v212, v0
	s_delay_alu instid0(VALU_DEP_3) | instskip(SKIP_2) | instid1(VALU_DEP_3)
	v_fmac_f32_e32 v204, v196, v2
	s_waitcnt lgkmcnt(0)
	v_mul_f32_e32 v212, v214, v5
	v_fma_f32 v205, v211, v1, -v0
	v_mul_f32_e32 v0, v214, v4
	s_delay_alu instid0(VALU_DEP_3) | instskip(NEXT) | instid1(VALU_DEP_2)
	v_fmac_f32_e32 v212, v213, v4
	v_fma_f32 v211, v213, v5, -v0
	v_dual_mul_f32 v0, v197, v2 :: v_dual_mul_f32 v197, v199, v7
	s_delay_alu instid0(VALU_DEP_1) | instskip(SKIP_1) | instid1(VALU_DEP_3)
	v_fma_f32 v195, v196, v3, -v0
	v_mul_f32_e32 v0, v199, v6
	v_fmac_f32_e32 v197, v198, v6
	s_delay_alu instid0(VALU_DEP_2) | instskip(SKIP_4) | instid1(VALU_DEP_1)
	v_fma_f32 v196, v198, v7, -v0
	scratch_load_b128 v[6:9], off, off offset:564 ; 16-byte Folded Reload
	ds_load_2addr_b64 v[0:3], v64 offset0:74 offset1:199
	s_waitcnt vmcnt(0) lgkmcnt(0)
	v_mul_f32_e32 v213, v7, v1
	v_fmac_f32_e32 v213, v6, v0
	s_delay_alu instid0(VALU_DEP_1) | instskip(NEXT) | instid1(VALU_DEP_1)
	v_dual_mul_f32 v0, v7, v0 :: v_dual_sub_f32 v27, v212, v213
	v_fma_f32 v207, v6, v1, -v0
	ds_load_2addr_b64 v[4:7], v200 offset0:56 offset1:181
	s_waitcnt lgkmcnt(0)
	v_dual_sub_f32 v25, v211, v207 :: v_dual_mul_f32 v214, v9, v5
	v_mul_f32_e32 v0, v9, v4
	s_delay_alu instid0(VALU_DEP_2) | instskip(NEXT) | instid1(VALU_DEP_2)
	v_fmac_f32_e32 v214, v8, v4
	v_fma_f32 v208, v8, v5, -v0
	scratch_load_b128 v[8:11], off, off offset:468 ; 16-byte Folded Reload
	v_sub_f32_e32 v26, v217, v214
	v_sub_f32_e32 v24, v205, v208
	s_waitcnt vmcnt(0)
	v_mul_f32_e32 v0, v9, v2
	v_mul_f32_e32 v200, v11, v7
	;; [unrolled: 1-line block ×3, first 2 shown]
	s_delay_alu instid0(VALU_DEP_3) | instskip(SKIP_1) | instid1(VALU_DEP_4)
	v_fma_f32 v199, v8, v3, -v0
	v_mul_f32_e32 v0, v11, v6
	v_fmac_f32_e32 v200, v10, v6
	s_delay_alu instid0(VALU_DEP_2) | instskip(SKIP_3) | instid1(VALU_DEP_1)
	v_fma_f32 v201, v10, v7, -v0
	ds_load_2addr_b64 v[4:7], v80 offset0:86 offset1:211
	s_waitcnt lgkmcnt(0)
	v_mul_f32_e32 v194, v127, v5
	v_fmac_f32_e32 v194, v126, v4
	v_fmac_f32_e32 v198, v8, v2
	ds_load_2addr_b64 v[0:3], v78 offset0:104 offset1:229
	ds_load_2addr_b64 v[8:11], v209 offset1:125
	s_waitcnt lgkmcnt(1)
	v_mul_f32_e32 v193, v125, v1
	v_mov_b32_e32 v229, v82
	s_delay_alu instid0(VALU_DEP_2) | instskip(SKIP_1) | instid1(VALU_DEP_1)
	v_fmac_f32_e32 v193, v124, v0
	v_dual_mul_f32 v0, v125, v0 :: v_dual_mul_f32 v125, v123, v7
	v_fma_f32 v192, v124, v1, -v0
	v_mul_f32_e32 v0, v127, v4
	s_delay_alu instid0(VALU_DEP_3) | instskip(NEXT) | instid1(VALU_DEP_2)
	v_dual_mul_f32 v124, v121, v3 :: v_dual_fmac_f32 v125, v122, v6
	v_fma_f32 v126, v126, v5, -v0
	v_mul_f32_e32 v0, v121, v2
	s_delay_alu instid0(VALU_DEP_3) | instskip(NEXT) | instid1(VALU_DEP_2)
	v_fmac_f32_e32 v124, v120, v2
	v_fma_f32 v120, v120, v3, -v0
	v_mul_f32_e32 v0, v123, v6
	s_delay_alu instid0(VALU_DEP_1)
	v_fma_f32 v121, v122, v7, -v0
	ds_load_2addr_b64 v[0:3], v82 offset0:68 offset1:193
	ds_load_2addr_b64 v[4:7], v203 offset0:50 offset1:175
	v_mov_b32_e32 v203, v83
	s_waitcnt lgkmcnt(1)
	v_mul_f32_e32 v123, v113, v1
	s_waitcnt lgkmcnt(0)
	v_mul_f32_e32 v127, v115, v5
	s_delay_alu instid0(VALU_DEP_2) | instskip(SKIP_1) | instid1(VALU_DEP_3)
	v_fmac_f32_e32 v123, v112, v0
	v_mul_f32_e32 v0, v113, v0
	v_fmac_f32_e32 v127, v114, v4
	s_delay_alu instid0(VALU_DEP_2) | instskip(SKIP_1) | instid1(VALU_DEP_1)
	v_fma_f32 v122, v112, v1, -v0
	v_mul_f32_e32 v0, v115, v4
	v_fma_f32 v115, v114, v5, -v0
	v_mul_f32_e32 v0, v109, v2
	v_mul_f32_e32 v114, v111, v7
	s_delay_alu instid0(VALU_DEP_2) | instskip(SKIP_1) | instid1(VALU_DEP_3)
	v_fma_f32 v113, v108, v3, -v0
	v_mul_f32_e32 v0, v111, v6
	v_fmac_f32_e32 v114, v110, v6
	s_delay_alu instid0(VALU_DEP_2)
	v_fma_f32 v110, v110, v7, -v0
	v_mul_f32_e32 v112, v109, v3
	ds_load_2addr_b64 v[4:7], v202 offset0:80 offset1:205
	v_fmac_f32_e32 v112, v108, v2
	ds_load_2addr_b64 v[0:3], v83 offset0:98 offset1:223
	s_waitcnt lgkmcnt(1)
	v_mul_f32_e32 v109, v107, v5
	s_waitcnt lgkmcnt(0)
	v_dual_mul_f32 v15, v99, v7 :: v_dual_mul_f32 v108, v105, v1
	v_mul_f32_e32 v13, v97, v3
	s_delay_alu instid0(VALU_DEP_3) | instskip(NEXT) | instid1(VALU_DEP_3)
	v_fmac_f32_e32 v109, v106, v4
	v_dual_fmac_f32 v15, v98, v6 :: v_dual_fmac_f32 v108, v104, v0
	s_delay_alu instid0(VALU_DEP_3) | instskip(NEXT) | instid1(VALU_DEP_1)
	v_dual_mul_f32 v0, v105, v0 :: v_dual_fmac_f32 v13, v96, v2
	v_fma_f32 v104, v104, v1, -v0
	v_mul_f32_e32 v0, v107, v4
	s_delay_alu instid0(VALU_DEP_1) | instskip(SKIP_1) | instid1(VALU_DEP_1)
	v_fma_f32 v105, v106, v5, -v0
	v_mul_f32_e32 v0, v97, v2
	v_fma_f32 v12, v96, v3, -v0
	v_mul_f32_e32 v0, v99, v6
	s_delay_alu instid0(VALU_DEP_1)
	v_fma_f32 v14, v98, v7, -v0
	ds_load_2addr_b64 v[0:3], v255 offset0:62 offset1:187
	ds_load_2addr_b64 v[4:7], v79 offset0:44 offset1:169
	s_waitcnt lgkmcnt(1)
	v_mul_f32_e32 v96, v93, v1
	s_waitcnt lgkmcnt(0)
	s_delay_alu instid0(VALU_DEP_1) | instskip(SKIP_1) | instid1(VALU_DEP_2)
	v_dual_mul_f32 v97, v95, v5 :: v_dual_fmac_f32 v96, v92, v0
	v_mul_f32_e32 v0, v93, v0
	v_fmac_f32_e32 v97, v94, v4
	s_delay_alu instid0(VALU_DEP_2) | instskip(SKIP_2) | instid1(VALU_DEP_2)
	v_fma_f32 v93, v92, v1, -v0
	v_mul_f32_e32 v0, v95, v4
	v_dual_mul_f32 v92, v89, v3 :: v_dual_sub_f32 v1, v214, v213
	v_fma_f32 v94, v94, v5, -v0
	v_mul_f32_e32 v0, v89, v2
	s_delay_alu instid0(VALU_DEP_3) | instskip(NEXT) | instid1(VALU_DEP_2)
	v_dual_fmac_f32 v92, v88, v2 :: v_dual_mul_f32 v89, v91, v7
	v_fma_f32 v88, v88, v3, -v0
	v_mul_f32_e32 v0, v91, v6
	s_delay_alu instid0(VALU_DEP_3) | instskip(NEXT) | instid1(VALU_DEP_2)
	v_fmac_f32_e32 v89, v90, v6
	v_fma_f32 v90, v90, v7, -v0
	v_sub_f32_e32 v0, v217, v212
	s_delay_alu instid0(VALU_DEP_1) | instskip(SKIP_1) | instid1(VALU_DEP_1)
	v_add_f32_e32 v22, v0, v1
	v_add_f32_e32 v0, v8, v217
	v_dual_add_f32 v1, v9, v205 :: v_dual_add_f32 v0, v0, v212
	s_delay_alu instid0(VALU_DEP_1) | instskip(NEXT) | instid1(VALU_DEP_1)
	v_dual_add_f32 v1, v1, v211 :: v_dual_add_f32 v0, v0, v213
	v_dual_add_f32 v1, v1, v207 :: v_dual_add_f32 v16, v0, v214
	s_delay_alu instid0(VALU_DEP_1) | instskip(SKIP_1) | instid1(VALU_DEP_2)
	v_dual_add_f32 v17, v1, v208 :: v_dual_add_f32 v0, v212, v213
	v_add_f32_e32 v1, v211, v207
	v_fma_f32 v18, -0.5, v0, v8
	s_delay_alu instid0(VALU_DEP_2) | instskip(SKIP_2) | instid1(VALU_DEP_4)
	v_fma_f32 v19, -0.5, v1, v9
	v_sub_f32_e32 v0, v205, v211
	v_sub_f32_e32 v1, v208, v207
	v_fmamk_f32 v20, v24, 0xbf737871, v18
	s_delay_alu instid0(VALU_DEP_4) | instskip(NEXT) | instid1(VALU_DEP_3)
	v_dual_fmamk_f32 v21, v26, 0x3f737871, v19 :: v_dual_fmac_f32 v18, 0x3f737871, v24
	v_add_f32_e32 v23, v0, v1
	ds_load_2addr_b64 v[4:7], v210 offset0:122 offset1:247
	ds_load_2addr_b64 v[0:3], v206 offset0:116 offset1:241
	s_waitcnt lgkmcnt(0)
	s_barrier
	buffer_gl0_inv
	scratch_load_b32 v28, off, off offset:284 ; 4-byte Folded Reload
	v_fmac_f32_e32 v20, 0xbf167918, v25
	v_dual_fmac_f32 v21, 0x3f167918, v27 :: v_dual_fmac_f32 v18, 0x3f167918, v25
	v_fmac_f32_e32 v19, 0xbf737871, v26
	s_delay_alu instid0(VALU_DEP_2) | instskip(NEXT) | instid1(VALU_DEP_3)
	v_dual_fmac_f32 v20, 0x3e9e377a, v22 :: v_dual_fmac_f32 v21, 0x3e9e377a, v23
	v_fmac_f32_e32 v18, 0x3e9e377a, v22
	s_delay_alu instid0(VALU_DEP_3) | instskip(NEXT) | instid1(VALU_DEP_1)
	v_dual_fmac_f32 v19, 0xbf167918, v27 :: v_dual_sub_f32 v22, v199, v201
	v_fmac_f32_e32 v19, 0x3e9e377a, v23
	v_sub_f32_e32 v23, v197, v198
	s_waitcnt vmcnt(0)
	ds_store_2addr_b64 v28, v[16:17], v[20:21] offset1:3
	v_dual_sub_f32 v16, v212, v217 :: v_dual_sub_f32 v17, v213, v214
	v_dual_add_f32 v20, v217, v214 :: v_dual_sub_f32 v21, v207, v208
	ds_store_b64 v28, v[18:19] offset:96
	v_dual_add_f32 v18, v10, v204 :: v_dual_add_f32 v17, v16, v17
	v_add_f32_e32 v16, v205, v208
	v_fma_f32 v8, -0.5, v20, v8
	v_dual_sub_f32 v20, v211, v205 :: v_dual_sub_f32 v19, v196, v199
	s_delay_alu instid0(VALU_DEP_3) | instskip(NEXT) | instid1(VALU_DEP_3)
	v_fma_f32 v9, -0.5, v16, v9
	v_fmamk_f32 v16, v25, 0x3f737871, v8
	v_fmac_f32_e32 v8, 0xbf737871, v25
	scratch_load_b32 v25, off, off offset:288 ; 4-byte Folded Reload
	v_dual_add_f32 v20, v20, v21 :: v_dual_add_f32 v21, v11, v195
	v_fmac_f32_e32 v16, 0xbf167918, v24
	v_fmac_f32_e32 v8, 0x3f167918, v24
	v_sub_f32_e32 v24, v204, v200
	s_delay_alu instid0(VALU_DEP_3) | instskip(NEXT) | instid1(VALU_DEP_3)
	v_fmac_f32_e32 v16, 0x3e9e377a, v17
	v_fmac_f32_e32 v8, 0x3e9e377a, v17
	v_fmamk_f32 v17, v27, 0xbf737871, v9
	v_fmac_f32_e32 v9, 0x3f737871, v27
	s_delay_alu instid0(VALU_DEP_2) | instskip(NEXT) | instid1(VALU_DEP_2)
	v_fmac_f32_e32 v17, 0x3f167918, v26
	v_fmac_f32_e32 v9, 0xbf167918, v26
	s_delay_alu instid0(VALU_DEP_2) | instskip(NEXT) | instid1(VALU_DEP_2)
	v_fmac_f32_e32 v17, 0x3e9e377a, v20
	v_dual_fmac_f32 v9, 0x3e9e377a, v20 :: v_dual_sub_f32 v20, v195, v201
	ds_store_2addr_b64 v28, v[16:17], v[8:9] offset0:6 offset1:9
	v_dual_add_f32 v8, v197, v198 :: v_dual_add_f32 v9, v204, v200
	v_dual_sub_f32 v16, v198, v200 :: v_dual_add_f32 v17, v195, v201
	s_delay_alu instid0(VALU_DEP_2) | instskip(NEXT) | instid1(VALU_DEP_3)
	v_fma_f32 v8, -0.5, v8, v10
	v_fma_f32 v10, -0.5, v9, v10
	v_sub_f32_e32 v9, v197, v204
	s_delay_alu instid0(VALU_DEP_1) | instskip(SKIP_1) | instid1(VALU_DEP_2)
	v_dual_add_f32 v9, v9, v16 :: v_dual_fmamk_f32 v16, v19, 0x3f737871, v10
	v_fmac_f32_e32 v10, 0xbf737871, v19
	v_fmac_f32_e32 v16, 0xbf167918, v20
	s_delay_alu instid0(VALU_DEP_2) | instskip(NEXT) | instid1(VALU_DEP_2)
	v_fmac_f32_e32 v10, 0x3f167918, v20
	v_fmac_f32_e32 v16, 0x3e9e377a, v9
	s_delay_alu instid0(VALU_DEP_2) | instskip(NEXT) | instid1(VALU_DEP_1)
	v_dual_fmac_f32 v10, 0x3e9e377a, v9 :: v_dual_add_f32 v9, v196, v199
	v_fma_f32 v9, -0.5, v9, v11
	v_fmac_f32_e32 v11, -0.5, v17
	v_dual_sub_f32 v17, v196, v195 :: v_dual_mov_b32 v34, v81
	s_delay_alu instid0(VALU_DEP_1) | instskip(SKIP_1) | instid1(VALU_DEP_2)
	v_dual_add_f32 v22, v17, v22 :: v_dual_fmamk_f32 v17, v23, 0xbf737871, v11
	v_dual_fmac_f32 v11, 0x3f737871, v23 :: v_dual_mov_b32 v222, v52
	v_fmac_f32_e32 v17, 0x3f167918, v24
	s_delay_alu instid0(VALU_DEP_2) | instskip(NEXT) | instid1(VALU_DEP_2)
	v_fmac_f32_e32 v11, 0xbf167918, v24
	v_fmac_f32_e32 v17, 0x3e9e377a, v22
	s_delay_alu instid0(VALU_DEP_2)
	v_fmac_f32_e32 v11, 0x3e9e377a, v22
	s_waitcnt vmcnt(0)
	ds_store_2addr_b64 v25, v[16:17], v[10:11] offset0:6 offset1:9
	v_sub_f32_e32 v16, v204, v197
	v_dual_sub_f32 v17, v200, v198 :: v_dual_add_f32 v10, v18, v197
	v_add_f32_e32 v11, v21, v196
	v_dual_sub_f32 v18, v195, v196 :: v_dual_sub_f32 v21, v201, v199
	s_delay_alu instid0(VALU_DEP_3)
	v_add_f32_e32 v22, v16, v17
	v_fmamk_f32 v17, v24, 0x3f737871, v9
	v_fmac_f32_e32 v9, 0xbf737871, v24
	scratch_load_b32 v24, off, off offset:292 ; 4-byte Folded Reload
	v_fmamk_f32 v16, v20, 0xbf737871, v8
	v_dual_fmac_f32 v8, 0x3f737871, v20 :: v_dual_add_f32 v11, v11, v199
	v_dual_add_f32 v18, v18, v21 :: v_dual_fmac_f32 v17, 0x3f167918, v23
	s_delay_alu instid0(VALU_DEP_3) | instskip(NEXT) | instid1(VALU_DEP_3)
	v_fmac_f32_e32 v16, 0xbf167918, v19
	v_fmac_f32_e32 v8, 0x3f167918, v19
	;; [unrolled: 1-line block ×3, first 2 shown]
	v_sub_f32_e32 v23, v194, v123
	v_dual_add_f32 v10, v10, v198 :: v_dual_add_f32 v11, v11, v201
	v_fmac_f32_e32 v16, 0x3e9e377a, v22
	v_fmac_f32_e32 v17, 0x3e9e377a, v18
	v_fmac_f32_e32 v8, 0x3e9e377a, v22
	s_delay_alu instid0(VALU_DEP_4)
	v_dual_add_f32 v10, v10, v200 :: v_dual_fmac_f32 v9, 0x3e9e377a, v18
	v_sub_f32_e32 v20, v192, v115
	v_dual_sub_f32 v22, v193, v127 :: v_dual_sub_f32 v21, v126, v122
	ds_store_2addr_b64 v25, v[10:11], v[16:17] offset1:3
	ds_store_b64 v25, v[8:9] offset:96
	v_dual_sub_f32 v8, v193, v194 :: v_dual_sub_f32 v9, v127, v123
	v_add_f32_e32 v10, v194, v123
	v_add_f32_e32 v11, v126, v122
	v_sub_f32_e32 v16, v192, v126
	s_delay_alu instid0(VALU_DEP_4) | instskip(SKIP_3) | instid1(VALU_DEP_4)
	v_dual_sub_f32 v17, v115, v122 :: v_dual_add_f32 v18, v8, v9
	v_dual_add_f32 v8, v4, v193 :: v_dual_add_f32 v9, v5, v192
	v_fma_f32 v10, -0.5, v10, v4
	v_fma_f32 v11, -0.5, v11, v5
	v_add_f32_e32 v19, v16, v17
	s_delay_alu instid0(VALU_DEP_4) | instskip(NEXT) | instid1(VALU_DEP_4)
	v_add_f32_e32 v8, v8, v194
	v_dual_add_f32 v9, v9, v126 :: v_dual_fmamk_f32 v16, v20, 0xbf737871, v10
	s_delay_alu instid0(VALU_DEP_4) | instskip(NEXT) | instid1(VALU_DEP_2)
	v_dual_fmamk_f32 v17, v22, 0x3f737871, v11 :: v_dual_fmac_f32 v10, 0x3f737871, v20
	v_dual_add_f32 v8, v8, v123 :: v_dual_add_f32 v9, v9, v122
	s_delay_alu instid0(VALU_DEP_3) | instskip(NEXT) | instid1(VALU_DEP_3)
	v_fmac_f32_e32 v16, 0xbf167918, v21
	v_dual_fmac_f32 v17, 0x3f167918, v23 :: v_dual_fmac_f32 v10, 0x3f167918, v21
	s_delay_alu instid0(VALU_DEP_3) | instskip(NEXT) | instid1(VALU_DEP_3)
	v_add_f32_e32 v8, v8, v127
	v_dual_add_f32 v9, v9, v115 :: v_dual_fmac_f32 v16, 0x3e9e377a, v18
	s_delay_alu instid0(VALU_DEP_3) | instskip(SKIP_2) | instid1(VALU_DEP_2)
	v_fmac_f32_e32 v17, 0x3e9e377a, v19
	v_fmac_f32_e32 v11, 0xbf737871, v22
	;; [unrolled: 1-line block ×3, first 2 shown]
	v_dual_sub_f32 v18, v113, v110 :: v_dual_fmac_f32 v11, 0xbf167918, v23
	s_delay_alu instid0(VALU_DEP_1)
	v_fmac_f32_e32 v11, 0x3e9e377a, v19
	s_waitcnt vmcnt(0)
	ds_store_2addr_b64 v24, v[8:9], v[16:17] offset1:3
	v_dual_sub_f32 v8, v194, v193 :: v_dual_sub_f32 v9, v123, v127
	v_add_f32_e32 v16, v193, v127
	v_sub_f32_e32 v17, v122, v115
	ds_store_b64 v24, v[10:11] offset:96
	v_sub_f32_e32 v11, v121, v113
	v_add_f32_e32 v9, v8, v9
	v_add_f32_e32 v8, v192, v115
	v_fma_f32 v4, -0.5, v16, v4
	v_sub_f32_e32 v16, v126, v192
	s_delay_alu instid0(VALU_DEP_3) | instskip(NEXT) | instid1(VALU_DEP_3)
	v_fma_f32 v5, -0.5, v8, v5
	v_fmamk_f32 v8, v21, 0x3f737871, v4
	v_fmac_f32_e32 v4, 0xbf737871, v21
	scratch_load_b32 v21, off, off offset:300 ; 4-byte Folded Reload
	v_dual_add_f32 v16, v16, v17 :: v_dual_add_f32 v17, v7, v120
	v_fmac_f32_e32 v8, 0xbf167918, v20
	v_fmac_f32_e32 v4, 0x3f167918, v20
	s_delay_alu instid0(VALU_DEP_2) | instskip(NEXT) | instid1(VALU_DEP_2)
	v_fmac_f32_e32 v8, 0x3e9e377a, v9
	v_fmac_f32_e32 v4, 0x3e9e377a, v9
	v_fmamk_f32 v9, v23, 0xbf737871, v5
	v_fmac_f32_e32 v5, 0x3f737871, v23
	s_delay_alu instid0(VALU_DEP_2) | instskip(NEXT) | instid1(VALU_DEP_2)
	v_fmac_f32_e32 v9, 0x3f167918, v22
	v_fmac_f32_e32 v5, 0xbf167918, v22
	s_delay_alu instid0(VALU_DEP_2) | instskip(NEXT) | instid1(VALU_DEP_2)
	v_fmac_f32_e32 v9, 0x3e9e377a, v16
	v_fmac_f32_e32 v5, 0x3e9e377a, v16
	v_add_f32_e32 v10, v6, v124
	v_sub_f32_e32 v16, v120, v110
	v_sub_f32_e32 v20, v124, v114
	ds_store_2addr_b64 v24, v[8:9], v[4:5] offset0:6 offset1:9
	v_dual_add_f32 v4, v125, v112 :: v_dual_add_f32 v5, v124, v114
	v_add_f32_e32 v9, v120, v110
	s_delay_alu instid0(VALU_DEP_2) | instskip(NEXT) | instid1(VALU_DEP_3)
	v_fma_f32 v4, -0.5, v4, v6
	v_fma_f32 v6, -0.5, v5, v6
	v_dual_sub_f32 v5, v125, v124 :: v_dual_sub_f32 v8, v112, v114
	v_dual_mov_b32 v240, v79 :: v_dual_sub_f32 v19, v125, v112
	s_delay_alu instid0(VALU_DEP_2) | instskip(SKIP_1) | instid1(VALU_DEP_2)
	v_dual_add_f32 v5, v5, v8 :: v_dual_fmamk_f32 v8, v11, 0x3f737871, v6
	v_fmac_f32_e32 v6, 0xbf737871, v11
	v_fmac_f32_e32 v8, 0xbf167918, v16
	s_delay_alu instid0(VALU_DEP_2) | instskip(NEXT) | instid1(VALU_DEP_2)
	v_fmac_f32_e32 v6, 0x3f167918, v16
	v_fmac_f32_e32 v8, 0x3e9e377a, v5
	s_delay_alu instid0(VALU_DEP_2) | instskip(SKIP_1) | instid1(VALU_DEP_1)
	v_fmac_f32_e32 v6, 0x3e9e377a, v5
	v_add_f32_e32 v5, v121, v113
	v_fma_f32 v5, -0.5, v5, v7
	v_fmac_f32_e32 v7, -0.5, v9
	v_sub_f32_e32 v9, v121, v120
	s_delay_alu instid0(VALU_DEP_1) | instskip(SKIP_1) | instid1(VALU_DEP_2)
	v_dual_add_f32 v18, v9, v18 :: v_dual_fmamk_f32 v9, v19, 0xbf737871, v7
	v_fmac_f32_e32 v7, 0x3f737871, v19
	v_fmac_f32_e32 v9, 0x3f167918, v20
	s_delay_alu instid0(VALU_DEP_2) | instskip(NEXT) | instid1(VALU_DEP_2)
	v_fmac_f32_e32 v7, 0xbf167918, v20
	v_fmac_f32_e32 v9, 0x3e9e377a, v18
	s_delay_alu instid0(VALU_DEP_2)
	v_fmac_f32_e32 v7, 0x3e9e377a, v18
	s_waitcnt vmcnt(0)
	ds_store_2addr_b64 v21, v[8:9], v[6:7] offset0:6 offset1:9
	v_dual_sub_f32 v8, v124, v125 :: v_dual_sub_f32 v9, v114, v112
	v_add_f32_e32 v6, v10, v125
	v_add_f32_e32 v7, v17, v121
	v_sub_f32_e32 v10, v120, v121
	v_sub_f32_e32 v17, v110, v113
	v_add_f32_e32 v18, v8, v9
	v_fmamk_f32 v9, v20, 0x3f737871, v5
	v_fmac_f32_e32 v5, 0xbf737871, v20
	scratch_load_b32 v20, off, off offset:304 ; 4-byte Folded Reload
	v_fmamk_f32 v8, v16, 0xbf737871, v4
	v_fmac_f32_e32 v4, 0x3f737871, v16
	v_dual_add_f32 v6, v6, v112 :: v_dual_add_f32 v7, v7, v113
	v_add_f32_e32 v10, v10, v17
	s_delay_alu instid0(VALU_DEP_4)
	v_fmac_f32_e32 v8, 0xbf167918, v11
	v_fmac_f32_e32 v9, 0x3f167918, v19
	;; [unrolled: 1-line block ×3, first 2 shown]
	v_dual_fmac_f32 v5, 0xbf167918, v19 :: v_dual_add_f32 v6, v6, v114
	v_add_f32_e32 v7, v7, v110
	v_fmac_f32_e32 v8, 0x3e9e377a, v18
	v_fmac_f32_e32 v9, 0x3e9e377a, v10
	;; [unrolled: 1-line block ×4, first 2 shown]
	v_sub_f32_e32 v16, v104, v94
	v_sub_f32_e32 v18, v108, v97
	ds_store_2addr_b64 v21, v[6:7], v[8:9] offset1:3
	v_add_f32_e32 v6, v109, v96
	ds_store_b64 v21, v[4:5] offset:96
	v_dual_sub_f32 v4, v108, v109 :: v_dual_sub_f32 v5, v97, v96
	v_add_f32_e32 v7, v105, v93
	v_fma_f32 v6, -0.5, v6, v0
	v_sub_f32_e32 v8, v104, v105
	v_sub_f32_e32 v9, v94, v93
	v_add_f32_e32 v10, v4, v5
	v_add_f32_e32 v4, v0, v108
	;; [unrolled: 1-line block ×3, first 2 shown]
	v_fma_f32 v7, -0.5, v7, v1
	v_add_f32_e32 v11, v8, v9
	v_sub_f32_e32 v17, v105, v93
	v_add_f32_e32 v4, v4, v109
	v_dual_add_f32 v5, v5, v105 :: v_dual_fmamk_f32 v8, v16, 0xbf737871, v6
	v_fmamk_f32 v9, v18, 0x3f737871, v7
	v_sub_f32_e32 v19, v109, v96
	s_delay_alu instid0(VALU_DEP_3) | instskip(NEXT) | instid1(VALU_DEP_4)
	v_dual_add_f32 v4, v4, v96 :: v_dual_add_f32 v5, v5, v93
	v_fmac_f32_e32 v8, 0xbf167918, v17
	v_fmac_f32_e32 v6, 0x3f737871, v16
	s_delay_alu instid0(VALU_DEP_3) | instskip(NEXT) | instid1(VALU_DEP_4)
	v_dual_fmac_f32 v9, 0x3f167918, v19 :: v_dual_add_f32 v4, v4, v97
	v_add_f32_e32 v5, v5, v94
	s_delay_alu instid0(VALU_DEP_4) | instskip(NEXT) | instid1(VALU_DEP_4)
	v_fmac_f32_e32 v8, 0x3e9e377a, v10
	v_fmac_f32_e32 v6, 0x3f167918, v17
	s_delay_alu instid0(VALU_DEP_4) | instskip(SKIP_1) | instid1(VALU_DEP_3)
	v_fmac_f32_e32 v9, 0x3e9e377a, v11
	v_fmac_f32_e32 v7, 0xbf737871, v18
	v_dual_mov_b32 v125, v78 :: v_dual_fmac_f32 v6, 0x3e9e377a, v10
	s_delay_alu instid0(VALU_DEP_2) | instskip(NEXT) | instid1(VALU_DEP_1)
	v_dual_sub_f32 v10, v88, v90 :: v_dual_fmac_f32 v7, 0xbf167918, v19
	v_fmac_f32_e32 v7, 0x3e9e377a, v11
	v_sub_f32_e32 v11, v15, v92
	s_waitcnt vmcnt(0)
	ds_store_2addr_b64 v20, v[4:5], v[8:9] offset1:3
	v_dual_sub_f32 v4, v109, v108 :: v_dual_sub_f32 v5, v96, v97
	v_dual_add_f32 v8, v108, v97 :: v_dual_sub_f32 v9, v93, v94
	ds_store_b64 v20, v[6:7] offset:96
	v_add_f32_e32 v6, v2, v13
	v_add_f32_e32 v5, v4, v5
	;; [unrolled: 1-line block ×3, first 2 shown]
	v_fma_f32 v0, -0.5, v8, v0
	v_sub_f32_e32 v8, v105, v104
	v_sub_f32_e32 v7, v14, v88
	s_delay_alu instid0(VALU_DEP_4) | instskip(NEXT) | instid1(VALU_DEP_4)
	v_fma_f32 v1, -0.5, v4, v1
	v_fmamk_f32 v4, v17, 0x3f737871, v0
	v_fmac_f32_e32 v0, 0xbf737871, v17
	scratch_load_b32 v17, off, off offset:296 ; 4-byte Folded Reload
	v_dual_add_f32 v8, v8, v9 :: v_dual_add_f32 v9, v3, v12
	v_fmac_f32_e32 v4, 0xbf167918, v16
	v_fmac_f32_e32 v0, 0x3f167918, v16
	v_sub_f32_e32 v16, v13, v89
	s_delay_alu instid0(VALU_DEP_3) | instskip(NEXT) | instid1(VALU_DEP_3)
	v_fmac_f32_e32 v4, 0x3e9e377a, v5
	v_fmac_f32_e32 v0, 0x3e9e377a, v5
	v_fmamk_f32 v5, v19, 0xbf737871, v1
	v_fmac_f32_e32 v1, 0x3f737871, v19
	s_delay_alu instid0(VALU_DEP_2) | instskip(NEXT) | instid1(VALU_DEP_2)
	v_fmac_f32_e32 v5, 0x3f167918, v18
	v_fmac_f32_e32 v1, 0xbf167918, v18
	s_delay_alu instid0(VALU_DEP_2) | instskip(NEXT) | instid1(VALU_DEP_2)
	v_fmac_f32_e32 v5, 0x3e9e377a, v8
	v_dual_fmac_f32 v1, 0x3e9e377a, v8 :: v_dual_sub_f32 v8, v12, v90
	ds_store_2addr_b64 v20, v[4:5], v[0:1] offset0:6 offset1:9
	v_dual_add_f32 v0, v15, v92 :: v_dual_add_f32 v1, v13, v89
	v_sub_f32_e32 v4, v92, v89
	v_add_f32_e32 v5, v12, v90
	s_delay_alu instid0(VALU_DEP_3) | instskip(NEXT) | instid1(VALU_DEP_4)
	v_fma_f32 v0, -0.5, v0, v2
	v_fma_f32 v2, -0.5, v1, v2
	v_sub_f32_e32 v1, v15, v13
	s_delay_alu instid0(VALU_DEP_1) | instskip(SKIP_1) | instid1(VALU_DEP_2)
	v_dual_add_f32 v1, v1, v4 :: v_dual_fmamk_f32 v4, v7, 0x3f737871, v2
	v_fmac_f32_e32 v2, 0xbf737871, v7
	v_fmac_f32_e32 v4, 0xbf167918, v8
	s_delay_alu instid0(VALU_DEP_2) | instskip(NEXT) | instid1(VALU_DEP_2)
	v_fmac_f32_e32 v2, 0x3f167918, v8
	v_fmac_f32_e32 v4, 0x3e9e377a, v1
	s_delay_alu instid0(VALU_DEP_2) | instskip(NEXT) | instid1(VALU_DEP_1)
	v_dual_fmac_f32 v2, 0x3e9e377a, v1 :: v_dual_add_f32 v1, v14, v88
	v_fma_f32 v1, -0.5, v1, v3
	v_fmac_f32_e32 v3, -0.5, v5
	v_sub_f32_e32 v5, v14, v12
	s_delay_alu instid0(VALU_DEP_1) | instskip(SKIP_1) | instid1(VALU_DEP_2)
	v_dual_add_f32 v10, v5, v10 :: v_dual_fmamk_f32 v5, v11, 0xbf737871, v3
	v_fmac_f32_e32 v3, 0x3f737871, v11
	v_fmac_f32_e32 v5, 0x3f167918, v16
	s_delay_alu instid0(VALU_DEP_2) | instskip(NEXT) | instid1(VALU_DEP_2)
	v_fmac_f32_e32 v3, 0xbf167918, v16
	v_fmac_f32_e32 v5, 0x3e9e377a, v10
	s_delay_alu instid0(VALU_DEP_2)
	v_fmac_f32_e32 v3, 0x3e9e377a, v10
	s_waitcnt vmcnt(0)
	ds_store_2addr_b64 v17, v[4:5], v[2:3] offset0:6 offset1:9
	v_sub_f32_e32 v4, v13, v15
	v_dual_sub_f32 v5, v89, v92 :: v_dual_add_f32 v2, v6, v15
	v_add_f32_e32 v3, v9, v14
	v_dual_sub_f32 v6, v12, v14 :: v_dual_sub_f32 v9, v90, v88
	s_delay_alu instid0(VALU_DEP_3)
	v_add_f32_e32 v10, v4, v5
	v_fmamk_f32 v4, v8, 0xbf737871, v0
	v_dual_fmamk_f32 v5, v16, 0x3f737871, v1 :: v_dual_fmac_f32 v0, 0x3f737871, v8
	v_fmac_f32_e32 v1, 0xbf737871, v16
	v_add_f32_e32 v2, v2, v92
	v_dual_add_f32 v3, v3, v88 :: v_dual_add_f32 v6, v6, v9
	v_fmac_f32_e32 v4, 0xbf167918, v7
	v_fmac_f32_e32 v5, 0x3f167918, v11
	;; [unrolled: 1-line block ×3, first 2 shown]
	v_dual_fmac_f32 v1, 0xbf167918, v11 :: v_dual_add_f32 v2, v2, v89
	v_add_f32_e32 v3, v3, v90
	v_fmac_f32_e32 v4, 0x3e9e377a, v10
	v_fmac_f32_e32 v5, 0x3e9e377a, v6
	;; [unrolled: 1-line block ×4, first 2 shown]
	ds_store_2addr_b64 v17, v[2:3], v[4:5] offset1:3
	ds_store_b64 v17, v[0:1] offset:96
	s_waitcnt lgkmcnt(0)
	s_barrier
	buffer_gl0_inv
	scratch_load_b128 v[6:9], off, off offset:448 ; 16-byte Folded Reload
	ds_load_2addr_b64 v[0:3], v81 offset0:110 offset1:235
	s_waitcnt vmcnt(0) lgkmcnt(0)
	v_mul_f32_e32 v113, v7, v1
	s_delay_alu instid0(VALU_DEP_1) | instskip(SKIP_1) | instid1(VALU_DEP_1)
	v_fmac_f32_e32 v113, v6, v0
	v_mul_f32_e32 v0, v7, v0
	v_fma_f32 v112, v6, v1, -v0
	ds_load_2addr_b64 v[4:7], v52 offset0:92 offset1:217
	s_waitcnt lgkmcnt(0)
	v_mul_f32_e32 v115, v9, v5
	v_mul_f32_e32 v0, v9, v4
	s_delay_alu instid0(VALU_DEP_2) | instskip(NEXT) | instid1(VALU_DEP_2)
	v_fmac_f32_e32 v115, v8, v4
	v_fma_f32 v114, v8, v5, -v0
	scratch_load_b128 v[8:11], off, off offset:396 ; 16-byte Folded Reload
	s_waitcnt vmcnt(0)
	v_mul_f32_e32 v0, v9, v2
	v_mul_f32_e32 v106, v9, v3
	;; [unrolled: 1-line block ×3, first 2 shown]
	s_delay_alu instid0(VALU_DEP_3) | instskip(SKIP_1) | instid1(VALU_DEP_4)
	v_fma_f32 v104, v8, v3, -v0
	v_mul_f32_e32 v0, v11, v6
	v_fmac_f32_e32 v106, v8, v2
	s_delay_alu instid0(VALU_DEP_4) | instskip(NEXT) | instid1(VALU_DEP_3)
	v_fmac_f32_e32 v107, v10, v6
	v_fma_f32 v105, v10, v7, -v0
	scratch_load_b128 v[6:9], off, off offset:412 ; 16-byte Folded Reload
	ds_load_2addr_b64 v[0:3], v64 offset0:74 offset1:199
	s_waitcnt vmcnt(0) lgkmcnt(0)
	v_mul_f32_e32 v121, v7, v1
	s_delay_alu instid0(VALU_DEP_1) | instskip(SKIP_1) | instid1(VALU_DEP_2)
	v_fmac_f32_e32 v121, v6, v0
	v_mul_f32_e32 v0, v7, v0
	v_sub_f32_e32 v31, v115, v121
	s_delay_alu instid0(VALU_DEP_2) | instskip(SKIP_4) | instid1(VALU_DEP_2)
	v_fma_f32 v120, v6, v1, -v0
	ds_load_2addr_b64 v[4:7], v230 offset0:56 offset1:181
	s_waitcnt lgkmcnt(0)
	v_mul_f32_e32 v123, v9, v5
	v_mul_f32_e32 v0, v9, v4
	v_fmac_f32_e32 v123, v8, v4
	s_delay_alu instid0(VALU_DEP_2)
	v_fma_f32 v122, v8, v5, -v0
	scratch_load_b128 v[8:11], off, off offset:380 ; 16-byte Folded Reload
	v_sub_f32_e32 v30, v113, v123
	v_sub_f32_e32 v28, v112, v122
	s_waitcnt vmcnt(0)
	v_mul_f32_e32 v0, v9, v2
	v_mul_f32_e32 v108, v9, v3
	;; [unrolled: 1-line block ×3, first 2 shown]
	s_delay_alu instid0(VALU_DEP_3) | instskip(SKIP_1) | instid1(VALU_DEP_4)
	v_fma_f32 v109, v8, v3, -v0
	v_mul_f32_e32 v0, v11, v6
	v_fmac_f32_e32 v108, v8, v2
	s_delay_alu instid0(VALU_DEP_4) | instskip(NEXT) | instid1(VALU_DEP_3)
	v_fmac_f32_e32 v110, v10, v6
	v_fma_f32 v111, v10, v7, -v0
	ds_load_2addr_b64 v[0:3], v78 offset0:104 offset1:229
	ds_load_2addr_b64 v[4:7], v80 offset0:86 offset1:211
	ds_load_2addr_b64 v[8:11], v209 offset1:125
	s_waitcnt lgkmcnt(2)
	v_mul_f32_e32 v92, v157, v1
	v_mul_f32_e32 v42, v153, v3
	s_waitcnt lgkmcnt(1)
	v_mul_f32_e32 v94, v159, v5
	s_delay_alu instid0(VALU_DEP_3) | instskip(SKIP_2) | instid1(VALU_DEP_4)
	v_dual_mul_f32 v49, v155, v7 :: v_dual_fmac_f32 v92, v156, v0
	v_mul_f32_e32 v0, v157, v0
	v_fmac_f32_e32 v42, v152, v2
	v_fmac_f32_e32 v94, v158, v4
	s_delay_alu instid0(VALU_DEP_4) | instskip(NEXT) | instid1(VALU_DEP_4)
	v_fmac_f32_e32 v49, v154, v6
	v_fma_f32 v93, v156, v1, -v0
	v_mul_f32_e32 v0, v159, v4
	s_delay_alu instid0(VALU_DEP_1) | instskip(SKIP_1) | instid1(VALU_DEP_1)
	v_fma_f32 v95, v158, v5, -v0
	v_mul_f32_e32 v0, v153, v2
	v_fma_f32 v40, v152, v3, -v0
	v_mul_f32_e32 v0, v155, v6
	s_delay_alu instid0(VALU_DEP_1)
	v_fma_f32 v43, v154, v7, -v0
	ds_load_2addr_b64 v[0:3], v82 offset0:68 offset1:193
	ds_load_2addr_b64 v[4:7], v29 offset0:50 offset1:175
	v_sub_f32_e32 v29, v114, v120
	s_waitcnt lgkmcnt(1)
	v_mul_f32_e32 v97, v149, v1
	s_waitcnt lgkmcnt(0)
	v_mul_f32_e32 v99, v151, v5
	v_mul_f32_e32 v90, v147, v7
	s_delay_alu instid0(VALU_DEP_3) | instskip(SKIP_1) | instid1(VALU_DEP_4)
	v_dual_mul_f32 v88, v145, v3 :: v_dual_fmac_f32 v97, v148, v0
	v_mul_f32_e32 v0, v149, v0
	v_fmac_f32_e32 v99, v150, v4
	s_delay_alu instid0(VALU_DEP_4) | instskip(NEXT) | instid1(VALU_DEP_4)
	v_fmac_f32_e32 v90, v146, v6
	v_fmac_f32_e32 v88, v144, v2
	s_delay_alu instid0(VALU_DEP_4) | instskip(SKIP_1) | instid1(VALU_DEP_1)
	v_fma_f32 v96, v148, v1, -v0
	v_mul_f32_e32 v0, v151, v4
	v_fma_f32 v98, v150, v5, -v0
	v_mul_f32_e32 v0, v145, v2
	s_delay_alu instid0(VALU_DEP_1) | instskip(SKIP_2) | instid1(VALU_DEP_2)
	v_fma_f32 v89, v144, v3, -v0
	v_mul_f32_e32 v0, v147, v6
	v_mov_b32_e32 v124, v64
	v_fma_f32 v91, v146, v7, -v0
	ds_load_2addr_b64 v[4:7], v202 offset0:80 offset1:205
	ds_load_2addr_b64 v[0:3], v83 offset0:98 offset1:223
	s_waitcnt lgkmcnt(0)
	v_dual_mul_f32 v38, v143, v5 :: v_dual_mul_f32 v13, v137, v3
	s_delay_alu instid0(VALU_DEP_1) | instskip(NEXT) | instid1(VALU_DEP_2)
	v_dual_mul_f32 v15, v139, v7 :: v_dual_fmac_f32 v38, v142, v4
	v_dual_mul_f32 v36, v141, v1 :: v_dual_fmac_f32 v13, v136, v2
	s_delay_alu instid0(VALU_DEP_1) | instskip(SKIP_1) | instid1(VALU_DEP_1)
	v_dual_fmac_f32 v15, v138, v6 :: v_dual_fmac_f32 v36, v140, v0
	v_mul_f32_e32 v0, v141, v0
	v_fma_f32 v37, v140, v1, -v0
	v_mul_f32_e32 v0, v143, v4
	s_delay_alu instid0(VALU_DEP_1) | instskip(SKIP_1) | instid1(VALU_DEP_1)
	v_fma_f32 v39, v142, v5, -v0
	v_mul_f32_e32 v0, v137, v2
	v_fma_f32 v12, v136, v3, -v0
	v_mul_f32_e32 v0, v139, v6
	s_delay_alu instid0(VALU_DEP_1)
	v_fma_f32 v14, v138, v7, -v0
	ds_load_2addr_b64 v[0:3], v255 offset0:62 offset1:187
	ds_load_2addr_b64 v[4:7], v79 offset0:44 offset1:169
	s_waitcnt lgkmcnt(1)
	v_mul_f32_e32 v48, v133, v1
	s_waitcnt lgkmcnt(0)
	v_mul_f32_e32 v22, v131, v7
	v_dual_mul_f32 v20, v129, v3 :: v_dual_mul_f32 v51, v135, v5
	s_delay_alu instid0(VALU_DEP_3) | instskip(SKIP_1) | instid1(VALU_DEP_4)
	v_fmac_f32_e32 v48, v132, v0
	v_mul_f32_e32 v0, v133, v0
	v_fmac_f32_e32 v22, v130, v6
	s_delay_alu instid0(VALU_DEP_4) | instskip(NEXT) | instid1(VALU_DEP_3)
	v_dual_fmac_f32 v20, v128, v2 :: v_dual_fmac_f32 v51, v134, v4
	v_fma_f32 v41, v132, v1, -v0
	v_mul_f32_e32 v0, v135, v4
	v_sub_f32_e32 v1, v123, v121
	s_delay_alu instid0(VALU_DEP_2) | instskip(SKIP_1) | instid1(VALU_DEP_1)
	v_fma_f32 v50, v134, v5, -v0
	v_mul_f32_e32 v0, v129, v2
	v_fma_f32 v21, v128, v3, -v0
	v_mul_f32_e32 v0, v131, v6
	s_delay_alu instid0(VALU_DEP_1) | instskip(SKIP_1) | instid1(VALU_DEP_1)
	v_fma_f32 v23, v130, v7, -v0
	v_sub_f32_e32 v0, v113, v115
	v_add_f32_e32 v26, v0, v1
	v_dual_add_f32 v0, v8, v113 :: v_dual_add_f32 v1, v9, v112
	s_delay_alu instid0(VALU_DEP_1) | instskip(NEXT) | instid1(VALU_DEP_1)
	v_dual_add_f32 v0, v0, v115 :: v_dual_add_f32 v1, v1, v114
	v_dual_add_f32 v0, v0, v121 :: v_dual_add_f32 v1, v1, v120
	s_delay_alu instid0(VALU_DEP_1) | instskip(SKIP_1) | instid1(VALU_DEP_1)
	v_dual_add_f32 v16, v0, v123 :: v_dual_add_f32 v17, v1, v122
	v_dual_add_f32 v0, v115, v121 :: v_dual_add_f32 v1, v114, v120
	v_fma_f32 v18, -0.5, v0, v8
	s_delay_alu instid0(VALU_DEP_2) | instskip(SKIP_1) | instid1(VALU_DEP_3)
	v_fma_f32 v19, -0.5, v1, v9
	v_dual_sub_f32 v0, v112, v114 :: v_dual_sub_f32 v1, v122, v120
	v_fmamk_f32 v24, v28, 0xbf737871, v18
	s_delay_alu instid0(VALU_DEP_3) | instskip(NEXT) | instid1(VALU_DEP_3)
	v_dual_fmamk_f32 v25, v30, 0x3f737871, v19 :: v_dual_fmac_f32 v18, 0x3f737871, v28
	v_add_f32_e32 v27, v0, v1
	ds_load_2addr_b64 v[4:7], v210 offset0:122 offset1:247
	ds_load_2addr_b64 v[0:3], v206 offset0:116 offset1:241
	s_waitcnt lgkmcnt(0)
	s_barrier
	buffer_gl0_inv
	scratch_load_b32 v32, off, off offset:484 ; 4-byte Folded Reload
	v_fmac_f32_e32 v24, 0xbf167918, v29
	v_dual_fmac_f32 v25, 0x3f167918, v31 :: v_dual_fmac_f32 v18, 0x3f167918, v29
	v_fmac_f32_e32 v19, 0xbf737871, v30
	s_delay_alu instid0(VALU_DEP_2) | instskip(NEXT) | instid1(VALU_DEP_3)
	v_dual_fmac_f32 v24, 0x3e9e377a, v26 :: v_dual_fmac_f32 v25, 0x3e9e377a, v27
	v_fmac_f32_e32 v18, 0x3e9e377a, v26
	s_delay_alu instid0(VALU_DEP_3) | instskip(SKIP_1) | instid1(VALU_DEP_2)
	v_fmac_f32_e32 v19, 0xbf167918, v31
	v_sub_f32_e32 v26, v109, v111
	v_fmac_f32_e32 v19, 0x3e9e377a, v27
	v_sub_f32_e32 v27, v107, v108
	s_waitcnt vmcnt(0)
	ds_store_2addr_b64 v32, v[16:17], v[24:25] offset1:15
	v_dual_sub_f32 v16, v115, v113 :: v_dual_sub_f32 v17, v121, v123
	v_dual_add_f32 v24, v113, v123 :: v_dual_sub_f32 v25, v120, v122
	ds_store_b64 v32, v[18:19] offset:480
	v_dual_add_f32 v18, v10, v106 :: v_dual_add_f32 v17, v16, v17
	v_add_f32_e32 v16, v112, v122
	v_fma_f32 v8, -0.5, v24, v8
	v_dual_sub_f32 v24, v114, v112 :: v_dual_sub_f32 v19, v105, v109
	s_delay_alu instid0(VALU_DEP_3) | instskip(NEXT) | instid1(VALU_DEP_3)
	v_fma_f32 v9, -0.5, v16, v9
	v_fmamk_f32 v16, v29, 0x3f737871, v8
	v_fmac_f32_e32 v8, 0xbf737871, v29
	scratch_load_b32 v29, off, off offset:516 ; 4-byte Folded Reload
	v_dual_add_f32 v24, v24, v25 :: v_dual_add_f32 v25, v11, v104
	v_fmac_f32_e32 v16, 0xbf167918, v28
	v_fmac_f32_e32 v8, 0x3f167918, v28
	v_sub_f32_e32 v28, v106, v110
	s_delay_alu instid0(VALU_DEP_3) | instskip(NEXT) | instid1(VALU_DEP_3)
	v_fmac_f32_e32 v16, 0x3e9e377a, v17
	v_fmac_f32_e32 v8, 0x3e9e377a, v17
	v_fmamk_f32 v17, v31, 0xbf737871, v9
	v_fmac_f32_e32 v9, 0x3f737871, v31
	s_delay_alu instid0(VALU_DEP_2) | instskip(NEXT) | instid1(VALU_DEP_2)
	v_fmac_f32_e32 v17, 0x3f167918, v30
	v_fmac_f32_e32 v9, 0xbf167918, v30
	s_delay_alu instid0(VALU_DEP_2) | instskip(NEXT) | instid1(VALU_DEP_2)
	v_fmac_f32_e32 v17, 0x3e9e377a, v24
	v_dual_fmac_f32 v9, 0x3e9e377a, v24 :: v_dual_sub_f32 v24, v104, v111
	ds_store_2addr_b64 v32, v[16:17], v[8:9] offset0:30 offset1:45
	v_dual_add_f32 v8, v107, v108 :: v_dual_add_f32 v9, v106, v110
	v_sub_f32_e32 v16, v108, v110
	v_add_f32_e32 v17, v104, v111
	s_delay_alu instid0(VALU_DEP_3) | instskip(NEXT) | instid1(VALU_DEP_4)
	v_fma_f32 v8, -0.5, v8, v10
	v_fma_f32 v10, -0.5, v9, v10
	v_sub_f32_e32 v9, v107, v106
	s_delay_alu instid0(VALU_DEP_1) | instskip(SKIP_1) | instid1(VALU_DEP_2)
	v_dual_add_f32 v9, v9, v16 :: v_dual_fmamk_f32 v16, v19, 0x3f737871, v10
	v_fmac_f32_e32 v10, 0xbf737871, v19
	v_fmac_f32_e32 v16, 0xbf167918, v24
	s_delay_alu instid0(VALU_DEP_2) | instskip(NEXT) | instid1(VALU_DEP_2)
	v_fmac_f32_e32 v10, 0x3f167918, v24
	v_fmac_f32_e32 v16, 0x3e9e377a, v9
	s_delay_alu instid0(VALU_DEP_2) | instskip(SKIP_1) | instid1(VALU_DEP_1)
	v_fmac_f32_e32 v10, 0x3e9e377a, v9
	v_add_f32_e32 v9, v105, v109
	v_fma_f32 v9, -0.5, v9, v11
	v_fmac_f32_e32 v11, -0.5, v17
	v_sub_f32_e32 v17, v105, v104
	s_delay_alu instid0(VALU_DEP_1) | instskip(SKIP_1) | instid1(VALU_DEP_2)
	v_dual_add_f32 v26, v17, v26 :: v_dual_fmamk_f32 v17, v27, 0xbf737871, v11
	v_fmac_f32_e32 v11, 0x3f737871, v27
	v_fmac_f32_e32 v17, 0x3f167918, v28
	s_delay_alu instid0(VALU_DEP_2) | instskip(NEXT) | instid1(VALU_DEP_2)
	v_fmac_f32_e32 v11, 0xbf167918, v28
	v_fmac_f32_e32 v17, 0x3e9e377a, v26
	s_delay_alu instid0(VALU_DEP_2)
	v_fmac_f32_e32 v11, 0x3e9e377a, v26
	s_waitcnt vmcnt(0)
	ds_store_2addr_b64 v29, v[16:17], v[10:11] offset0:30 offset1:45
	v_sub_f32_e32 v16, v106, v107
	v_sub_f32_e32 v17, v110, v108
	v_dual_add_f32 v10, v18, v107 :: v_dual_add_f32 v11, v25, v105
	v_sub_f32_e32 v18, v104, v105
	v_sub_f32_e32 v25, v111, v109
	s_delay_alu instid0(VALU_DEP_4)
	v_add_f32_e32 v26, v16, v17
	v_fmamk_f32 v16, v24, 0xbf737871, v8
	v_dual_fmamk_f32 v17, v28, 0x3f737871, v9 :: v_dual_fmac_f32 v8, 0x3f737871, v24
	v_fmac_f32_e32 v9, 0xbf737871, v28
	v_dual_add_f32 v10, v10, v108 :: v_dual_add_f32 v11, v11, v109
	v_add_f32_e32 v18, v18, v25
	v_fmac_f32_e32 v16, 0xbf167918, v19
	v_fmac_f32_e32 v17, 0x3f167918, v27
	;; [unrolled: 1-line block ×3, first 2 shown]
	v_dual_fmac_f32 v9, 0xbf167918, v27 :: v_dual_add_f32 v10, v10, v110
	s_delay_alu instid0(VALU_DEP_4) | instskip(NEXT) | instid1(VALU_DEP_4)
	v_dual_add_f32 v11, v11, v111 :: v_dual_fmac_f32 v16, 0x3e9e377a, v26
	v_fmac_f32_e32 v17, 0x3e9e377a, v18
	s_delay_alu instid0(VALU_DEP_4) | instskip(NEXT) | instid1(VALU_DEP_4)
	v_fmac_f32_e32 v8, 0x3e9e377a, v26
	v_fmac_f32_e32 v9, 0x3e9e377a, v18
	v_sub_f32_e32 v24, v93, v98
	v_sub_f32_e32 v26, v92, v99
	ds_store_2addr_b64 v29, v[10:11], v[16:17] offset1:15
	v_add_f32_e32 v10, v94, v97
	ds_store_b64 v29, v[8:9] offset:480
	scratch_load_b32 v29, off, off offset:360 ; 4-byte Folded Reload
	v_dual_sub_f32 v8, v92, v94 :: v_dual_sub_f32 v9, v99, v97
	v_add_f32_e32 v11, v95, v96
	v_fma_f32 v10, -0.5, v10, v4
	v_dual_sub_f32 v16, v93, v95 :: v_dual_sub_f32 v17, v98, v96
	s_delay_alu instid0(VALU_DEP_4) | instskip(SKIP_2) | instid1(VALU_DEP_4)
	v_dual_add_f32 v18, v8, v9 :: v_dual_mov_b32 v105, v34
	v_dual_add_f32 v8, v4, v92 :: v_dual_add_f32 v9, v5, v93
	v_fma_f32 v11, -0.5, v11, v5
	v_add_f32_e32 v19, v16, v17
	s_delay_alu instid0(VALU_DEP_3) | instskip(NEXT) | instid1(VALU_DEP_4)
	v_dual_sub_f32 v25, v95, v96 :: v_dual_add_f32 v8, v8, v94
	v_dual_add_f32 v9, v9, v95 :: v_dual_fmamk_f32 v16, v24, 0xbf737871, v10
	s_delay_alu instid0(VALU_DEP_4) | instskip(SKIP_1) | instid1(VALU_DEP_3)
	v_fmamk_f32 v17, v26, 0x3f737871, v11
	v_sub_f32_e32 v27, v94, v97
	v_dual_add_f32 v8, v8, v97 :: v_dual_add_f32 v9, v9, v96
	s_delay_alu instid0(VALU_DEP_4) | instskip(NEXT) | instid1(VALU_DEP_3)
	v_fmac_f32_e32 v16, 0xbf167918, v25
	v_dual_sub_f32 v28, v96, v98 :: v_dual_fmac_f32 v17, 0x3f167918, v27
	s_delay_alu instid0(VALU_DEP_3) | instskip(NEXT) | instid1(VALU_DEP_3)
	v_dual_add_f32 v8, v8, v99 :: v_dual_add_f32 v9, v9, v98
	v_fmac_f32_e32 v16, 0x3e9e377a, v18
	v_fmac_f32_e32 v10, 0x3f737871, v24
	s_delay_alu instid0(VALU_DEP_4) | instskip(SKIP_1) | instid1(VALU_DEP_3)
	v_fmac_f32_e32 v17, 0x3e9e377a, v19
	v_fmac_f32_e32 v11, 0xbf737871, v26
	;; [unrolled: 1-line block ×3, first 2 shown]
	s_delay_alu instid0(VALU_DEP_2) | instskip(NEXT) | instid1(VALU_DEP_2)
	v_fmac_f32_e32 v11, 0xbf167918, v27
	v_fmac_f32_e32 v10, 0x3e9e377a, v18
	v_sub_f32_e32 v18, v40, v91
	s_delay_alu instid0(VALU_DEP_3)
	v_fmac_f32_e32 v11, 0x3e9e377a, v19
	v_sub_f32_e32 v19, v49, v88
	s_waitcnt vmcnt(0)
	ds_store_2addr_b64 v29, v[8:9], v[16:17] offset1:15
	v_dual_sub_f32 v8, v94, v92 :: v_dual_sub_f32 v9, v97, v99
	v_dual_add_f32 v16, v92, v99 :: v_dual_add_f32 v17, v93, v98
	ds_store_b64 v29, v[10:11] offset:480
	v_dual_add_f32 v10, v6, v42 :: v_dual_add_f32 v9, v8, v9
	v_sub_f32_e32 v8, v95, v93
	v_fma_f32 v4, -0.5, v16, v4
	v_fma_f32 v5, -0.5, v17, v5
	v_add_f32_e32 v11, v7, v40
	s_delay_alu instid0(VALU_DEP_4) | instskip(NEXT) | instid1(VALU_DEP_4)
	v_dual_sub_f32 v17, v43, v89 :: v_dual_add_f32 v16, v8, v28
	v_fmamk_f32 v8, v25, 0x3f737871, v4
	v_fmac_f32_e32 v4, 0xbf737871, v25
	scratch_load_b32 v25, off, off offset:524 ; 4-byte Folded Reload
	v_fmac_f32_e32 v8, 0xbf167918, v24
	v_fmac_f32_e32 v4, 0x3f167918, v24
	v_sub_f32_e32 v24, v42, v90
	s_delay_alu instid0(VALU_DEP_3) | instskip(NEXT) | instid1(VALU_DEP_3)
	v_fmac_f32_e32 v8, 0x3e9e377a, v9
	v_fmac_f32_e32 v4, 0x3e9e377a, v9
	v_fmamk_f32 v9, v27, 0xbf737871, v5
	v_fmac_f32_e32 v5, 0x3f737871, v27
	s_delay_alu instid0(VALU_DEP_2) | instskip(NEXT) | instid1(VALU_DEP_2)
	v_fmac_f32_e32 v9, 0x3f167918, v26
	v_fmac_f32_e32 v5, 0xbf167918, v26
	s_delay_alu instid0(VALU_DEP_2) | instskip(NEXT) | instid1(VALU_DEP_2)
	v_fmac_f32_e32 v9, 0x3e9e377a, v16
	v_dual_fmac_f32 v5, 0x3e9e377a, v16 :: v_dual_sub_f32 v16, v89, v91
	ds_store_2addr_b64 v29, v[8:9], v[4:5] offset0:30 offset1:45
	v_dual_add_f32 v4, v49, v88 :: v_dual_add_f32 v5, v42, v90
	v_sub_f32_e32 v8, v88, v90
	s_delay_alu instid0(VALU_DEP_2) | instskip(NEXT) | instid1(VALU_DEP_3)
	v_fma_f32 v4, -0.5, v4, v6
	v_fma_f32 v6, -0.5, v5, v6
	v_sub_f32_e32 v5, v49, v42
	s_delay_alu instid0(VALU_DEP_1) | instskip(SKIP_1) | instid1(VALU_DEP_1)
	v_add_f32_e32 v9, v5, v8
	v_dual_add_f32 v5, v43, v89 :: v_dual_add_f32 v8, v40, v91
	v_fma_f32 v5, -0.5, v5, v7
	s_delay_alu instid0(VALU_DEP_2) | instskip(SKIP_1) | instid1(VALU_DEP_1)
	v_fmac_f32_e32 v7, -0.5, v8
	v_sub_f32_e32 v8, v43, v40
	v_add_f32_e32 v16, v8, v16
	v_fmamk_f32 v8, v17, 0x3f737871, v6
	v_fmac_f32_e32 v6, 0xbf737871, v17
	s_delay_alu instid0(VALU_DEP_2) | instskip(NEXT) | instid1(VALU_DEP_2)
	v_fmac_f32_e32 v8, 0xbf167918, v18
	v_fmac_f32_e32 v6, 0x3f167918, v18
	s_delay_alu instid0(VALU_DEP_2) | instskip(NEXT) | instid1(VALU_DEP_2)
	v_fmac_f32_e32 v8, 0x3e9e377a, v9
	v_fmac_f32_e32 v6, 0x3e9e377a, v9
	v_fmamk_f32 v9, v19, 0xbf737871, v7
	v_fmac_f32_e32 v7, 0x3f737871, v19
	s_delay_alu instid0(VALU_DEP_2) | instskip(NEXT) | instid1(VALU_DEP_2)
	v_fmac_f32_e32 v9, 0x3f167918, v24
	v_fmac_f32_e32 v7, 0xbf167918, v24
	s_delay_alu instid0(VALU_DEP_2) | instskip(NEXT) | instid1(VALU_DEP_2)
	v_fmac_f32_e32 v9, 0x3e9e377a, v16
	v_fmac_f32_e32 v7, 0x3e9e377a, v16
	s_waitcnt vmcnt(0)
	ds_store_2addr_b64 v25, v[8:9], v[6:7] offset0:30 offset1:45
	v_sub_f32_e32 v8, v42, v49
	v_sub_f32_e32 v9, v90, v88
	v_dual_add_f32 v6, v10, v49 :: v_dual_add_f32 v7, v11, v43
	v_dual_sub_f32 v10, v40, v43 :: v_dual_sub_f32 v11, v91, v89
	s_delay_alu instid0(VALU_DEP_3) | instskip(SKIP_2) | instid1(VALU_DEP_4)
	v_add_f32_e32 v16, v8, v9
	v_fmamk_f32 v8, v18, 0xbf737871, v4
	v_dual_fmamk_f32 v9, v24, 0x3f737871, v5 :: v_dual_fmac_f32 v4, 0x3f737871, v18
	v_dual_fmac_f32 v5, 0xbf737871, v24 :: v_dual_add_f32 v10, v10, v11
	s_delay_alu instid0(VALU_DEP_3) | instskip(NEXT) | instid1(VALU_DEP_3)
	v_fmac_f32_e32 v8, 0xbf167918, v17
	v_dual_fmac_f32 v9, 0x3f167918, v19 :: v_dual_fmac_f32 v4, 0x3f167918, v17
	s_delay_alu instid0(VALU_DEP_3) | instskip(SKIP_2) | instid1(VALU_DEP_4)
	v_fmac_f32_e32 v5, 0xbf167918, v19
	v_sub_f32_e32 v17, v39, v41
	v_add_f32_e32 v7, v7, v89
	v_dual_fmac_f32 v9, 0x3e9e377a, v10 :: v_dual_fmac_f32 v4, 0x3e9e377a, v16
	s_delay_alu instid0(VALU_DEP_4) | instskip(NEXT) | instid1(VALU_DEP_3)
	v_dual_fmac_f32 v5, 0x3e9e377a, v10 :: v_dual_fmac_f32 v8, 0x3e9e377a, v16
	v_dual_add_f32 v7, v7, v91 :: v_dual_sub_f32 v16, v37, v50
	v_sub_f32_e32 v18, v36, v51
	ds_store_b64 v25, v[4:5] offset:480
	v_dual_sub_f32 v4, v36, v38 :: v_dual_sub_f32 v5, v51, v48
	v_dual_sub_f32 v19, v38, v48 :: v_dual_sub_f32 v24, v41, v50
	s_delay_alu instid0(VALU_DEP_2) | instskip(SKIP_1) | instid1(VALU_DEP_1)
	v_add_f32_e32 v10, v4, v5
	v_dual_add_f32 v5, v1, v37 :: v_dual_add_f32 v4, v0, v36
	v_dual_add_f32 v5, v5, v39 :: v_dual_add_f32 v4, v4, v38
	s_delay_alu instid0(VALU_DEP_1) | instskip(NEXT) | instid1(VALU_DEP_1)
	v_dual_add_f32 v5, v5, v41 :: v_dual_add_f32 v6, v6, v88
	v_dual_add_f32 v4, v4, v48 :: v_dual_add_f32 v5, v5, v50
	s_delay_alu instid0(VALU_DEP_2) | instskip(NEXT) | instid1(VALU_DEP_2)
	v_add_f32_e32 v6, v6, v90
	v_add_f32_e32 v4, v4, v51
	ds_store_2addr_b64 v25, v[6:7], v[8:9] offset1:15
	scratch_load_b32 v25, off, off offset:528 ; 4-byte Folded Reload
	v_dual_add_f32 v6, v38, v48 :: v_dual_add_f32 v7, v39, v41
	v_dual_sub_f32 v8, v37, v39 :: v_dual_sub_f32 v9, v50, v41
	s_delay_alu instid0(VALU_DEP_2) | instskip(NEXT) | instid1(VALU_DEP_3)
	v_fma_f32 v6, -0.5, v6, v0
	v_fma_f32 v7, -0.5, v7, v1
	s_delay_alu instid0(VALU_DEP_3) | instskip(NEXT) | instid1(VALU_DEP_3)
	v_add_f32_e32 v11, v8, v9
	v_fmamk_f32 v8, v16, 0xbf737871, v6
	s_delay_alu instid0(VALU_DEP_3) | instskip(SKIP_1) | instid1(VALU_DEP_3)
	v_dual_fmamk_f32 v9, v18, 0x3f737871, v7 :: v_dual_fmac_f32 v6, 0x3f737871, v16
	v_fmac_f32_e32 v7, 0xbf737871, v18
	v_fmac_f32_e32 v8, 0xbf167918, v17
	s_delay_alu instid0(VALU_DEP_3) | instskip(NEXT) | instid1(VALU_DEP_3)
	v_dual_fmac_f32 v9, 0x3f167918, v19 :: v_dual_fmac_f32 v6, 0x3f167918, v17
	v_fmac_f32_e32 v7, 0xbf167918, v19
	s_delay_alu instid0(VALU_DEP_2) | instskip(NEXT) | instid1(VALU_DEP_2)
	v_dual_fmac_f32 v8, 0x3e9e377a, v10 :: v_dual_fmac_f32 v9, 0x3e9e377a, v11
	v_dual_fmac_f32 v6, 0x3e9e377a, v10 :: v_dual_fmac_f32 v7, 0x3e9e377a, v11
	v_sub_f32_e32 v10, v12, v23
	s_waitcnt vmcnt(0)
	ds_store_2addr_b64 v25, v[4:5], v[8:9] offset1:15
	v_dual_add_f32 v8, v36, v51 :: v_dual_add_f32 v9, v37, v50
	v_dual_sub_f32 v5, v48, v51 :: v_dual_sub_f32 v4, v38, v36
	ds_store_b64 v25, v[6:7] offset:480
	v_fma_f32 v0, -0.5, v8, v0
	v_fma_f32 v1, -0.5, v9, v1
	v_add_f32_e32 v6, v2, v13
	v_add_f32_e32 v5, v4, v5
	v_sub_f32_e32 v4, v39, v37
	v_add_f32_e32 v7, v3, v12
	s_delay_alu instid0(VALU_DEP_2)
	v_dual_sub_f32 v9, v14, v21 :: v_dual_add_f32 v8, v4, v24
	v_fmamk_f32 v4, v17, 0x3f737871, v0
	v_fmac_f32_e32 v0, 0xbf737871, v17
	scratch_load_b32 v17, off, off offset:520 ; 4-byte Folded Reload
	v_fmac_f32_e32 v4, 0xbf167918, v16
	v_fmac_f32_e32 v0, 0x3f167918, v16
	v_sub_f32_e32 v16, v13, v22
	s_delay_alu instid0(VALU_DEP_3) | instskip(NEXT) | instid1(VALU_DEP_3)
	v_fmac_f32_e32 v4, 0x3e9e377a, v5
	v_fmac_f32_e32 v0, 0x3e9e377a, v5
	v_fmamk_f32 v5, v19, 0xbf737871, v1
	v_fmac_f32_e32 v1, 0x3f737871, v19
	s_delay_alu instid0(VALU_DEP_2) | instskip(NEXT) | instid1(VALU_DEP_2)
	v_fmac_f32_e32 v5, 0x3f167918, v18
	v_fmac_f32_e32 v1, 0xbf167918, v18
	s_delay_alu instid0(VALU_DEP_2) | instskip(NEXT) | instid1(VALU_DEP_2)
	v_fmac_f32_e32 v5, 0x3e9e377a, v8
	v_dual_fmac_f32 v1, 0x3e9e377a, v8 :: v_dual_sub_f32 v8, v21, v23
	v_sub_f32_e32 v11, v15, v20
	ds_store_2addr_b64 v25, v[4:5], v[0:1] offset0:30 offset1:45
	v_dual_add_f32 v0, v15, v20 :: v_dual_add_f32 v1, v13, v22
	v_sub_f32_e32 v4, v20, v22
	s_delay_alu instid0(VALU_DEP_2) | instskip(NEXT) | instid1(VALU_DEP_3)
	v_fma_f32 v0, -0.5, v0, v2
	v_fma_f32 v2, -0.5, v1, v2
	v_sub_f32_e32 v1, v15, v13
	s_delay_alu instid0(VALU_DEP_1) | instskip(SKIP_1) | instid1(VALU_DEP_1)
	v_add_f32_e32 v5, v1, v4
	v_dual_add_f32 v1, v14, v21 :: v_dual_add_f32 v4, v12, v23
	v_fma_f32 v1, -0.5, v1, v3
	s_delay_alu instid0(VALU_DEP_2) | instskip(SKIP_1) | instid1(VALU_DEP_1)
	v_fmac_f32_e32 v3, -0.5, v4
	v_sub_f32_e32 v4, v14, v12
	v_add_f32_e32 v8, v4, v8
	v_fmamk_f32 v4, v9, 0x3f737871, v2
	v_fmac_f32_e32 v2, 0xbf737871, v9
	s_delay_alu instid0(VALU_DEP_2) | instskip(NEXT) | instid1(VALU_DEP_2)
	v_fmac_f32_e32 v4, 0xbf167918, v10
	v_fmac_f32_e32 v2, 0x3f167918, v10
	s_delay_alu instid0(VALU_DEP_2) | instskip(NEXT) | instid1(VALU_DEP_2)
	v_fmac_f32_e32 v4, 0x3e9e377a, v5
	v_fmac_f32_e32 v2, 0x3e9e377a, v5
	v_fmamk_f32 v5, v11, 0xbf737871, v3
	v_fmac_f32_e32 v3, 0x3f737871, v11
	s_delay_alu instid0(VALU_DEP_2) | instskip(NEXT) | instid1(VALU_DEP_2)
	v_fmac_f32_e32 v5, 0x3f167918, v16
	v_fmac_f32_e32 v3, 0xbf167918, v16
	s_delay_alu instid0(VALU_DEP_2) | instskip(NEXT) | instid1(VALU_DEP_2)
	v_fmac_f32_e32 v5, 0x3e9e377a, v8
	v_fmac_f32_e32 v3, 0x3e9e377a, v8
	s_waitcnt vmcnt(0)
	ds_store_2addr_b64 v17, v[4:5], v[2:3] offset0:30 offset1:45
	v_dual_sub_f32 v4, v13, v15 :: v_dual_sub_f32 v5, v22, v20
	v_dual_add_f32 v2, v6, v15 :: v_dual_add_f32 v3, v7, v14
	v_dual_sub_f32 v6, v12, v14 :: v_dual_sub_f32 v7, v23, v21
	s_delay_alu instid0(VALU_DEP_3)
	v_add_f32_e32 v8, v4, v5
	v_fmamk_f32 v4, v10, 0xbf737871, v0
	v_dual_fmamk_f32 v5, v16, 0x3f737871, v1 :: v_dual_fmac_f32 v0, 0x3f737871, v10
	v_fmac_f32_e32 v1, 0xbf737871, v16
	v_dual_add_f32 v2, v2, v20 :: v_dual_add_f32 v3, v3, v21
	v_add_f32_e32 v6, v6, v7
	v_fmac_f32_e32 v4, 0xbf167918, v9
	v_dual_fmac_f32 v5, 0x3f167918, v11 :: v_dual_fmac_f32 v0, 0x3f167918, v9
	s_delay_alu instid0(VALU_DEP_4) | instskip(NEXT) | instid1(VALU_DEP_3)
	v_dual_fmac_f32 v1, 0xbf167918, v11 :: v_dual_add_f32 v2, v2, v22
	v_dual_add_f32 v3, v3, v23 :: v_dual_fmac_f32 v4, 0x3e9e377a, v8
	s_delay_alu instid0(VALU_DEP_3) | instskip(NEXT) | instid1(VALU_DEP_3)
	v_dual_fmac_f32 v5, 0x3e9e377a, v6 :: v_dual_fmac_f32 v0, 0x3e9e377a, v8
	v_fmac_f32_e32 v1, 0x3e9e377a, v6
	ds_store_2addr_b64 v17, v[2:3], v[4:5] offset1:15
	ds_store_b64 v17, v[0:1] offset:480
	s_waitcnt lgkmcnt(0)
	s_barrier
	buffer_gl0_inv
	scratch_load_b128 v[4:7], off, off offset:500 ; 16-byte Folded Reload
	ds_load_2addr_b64 v[0:3], v79 offset0:44 offset1:169
	s_waitcnt lgkmcnt(0)
	v_mul_f32_e32 v38, v228, v1
	v_mul_f32_e32 v10, v216, v3
	s_delay_alu instid0(VALU_DEP_2) | instskip(SKIP_1) | instid1(VALU_DEP_1)
	v_fmac_f32_e32 v38, v227, v0
	v_mul_f32_e32 v0, v228, v0
	v_fma_f32 v39, v227, v1, -v0
	v_mul_f32_e32 v0, v216, v2
	v_fmac_f32_e32 v10, v215, v2
	s_delay_alu instid0(VALU_DEP_2) | instskip(SKIP_4) | instid1(VALU_DEP_2)
	v_fma_f32 v11, v215, v3, -v0
	ds_load_2addr_b64 v[0:3], v33 offset0:50 offset1:175
	s_waitcnt lgkmcnt(0)
	v_mul_f32_e32 v89, v254, v3
	v_mul_f32_e32 v15, v119, v1
	v_fmac_f32_e32 v89, v253, v2
	v_mul_f32_e32 v2, v254, v2
	s_delay_alu instid0(VALU_DEP_3) | instskip(SKIP_1) | instid1(VALU_DEP_3)
	v_fmac_f32_e32 v15, v118, v0
	v_mul_f32_e32 v0, v119, v0
	v_fma_f32 v88, v253, v3, -v2
	s_delay_alu instid0(VALU_DEP_2) | instskip(SKIP_4) | instid1(VALU_DEP_2)
	v_fma_f32 v14, v118, v1, -v0
	ds_load_2addr_b64 v[0:3], v255 offset0:62 offset1:187
	s_waitcnt lgkmcnt(0)
	v_mul_f32_e32 v13, v117, v3
	v_mul_f32_e32 v43, v85, v1
	v_fmac_f32_e32 v13, v116, v2
	s_delay_alu instid0(VALU_DEP_2) | instskip(SKIP_1) | instid1(VALU_DEP_2)
	v_dual_mul_f32 v2, v117, v2 :: v_dual_fmac_f32 v43, v84, v0
	v_mul_f32_e32 v0, v85, v0
	v_fma_f32 v12, v116, v3, -v2
	s_delay_alu instid0(VALU_DEP_2) | instskip(SKIP_4) | instid1(VALU_DEP_2)
	v_fma_f32 v42, v84, v1, -v0
	ds_load_2addr_b64 v[0:3], v230 offset0:56 offset1:181
	s_waitcnt lgkmcnt(0)
	v_mul_f32_e32 v50, v87, v3
	v_mul_f32_e32 v84, v226, v1
	v_fmac_f32_e32 v50, v86, v2
	v_mul_f32_e32 v2, v87, v2
	s_delay_alu instid0(VALU_DEP_3) | instskip(SKIP_1) | instid1(VALU_DEP_3)
	v_fmac_f32_e32 v84, v225, v0
	v_mul_f32_e32 v0, v226, v0
	v_fma_f32 v49, v86, v3, -v2
	s_delay_alu instid0(VALU_DEP_2) | instskip(SKIP_3) | instid1(VALU_DEP_1)
	v_fma_f32 v79, v225, v1, -v0
	ds_load_2addr_b64 v[0:3], v82 offset0:68 offset1:193
	s_waitcnt lgkmcnt(0)
	v_dual_mul_f32 v78, v224, v3 :: v_dual_mul_f32 v23, v103, v1
	v_fmac_f32_e32 v78, v223, v2
	s_delay_alu instid0(VALU_DEP_2) | instskip(SKIP_1) | instid1(VALU_DEP_2)
	v_dual_mul_f32 v2, v224, v2 :: v_dual_fmac_f32 v23, v102, v0
	v_mul_f32_e32 v0, v103, v0
	v_fma_f32 v76, v223, v3, -v2
	s_delay_alu instid0(VALU_DEP_2) | instskip(SKIP_4) | instid1(VALU_DEP_2)
	v_fma_f32 v22, v102, v1, -v0
	ds_load_2addr_b64 v[0:3], v202 offset0:80 offset1:205
	s_waitcnt lgkmcnt(0)
	v_mul_f32_e32 v21, v101, v3
	v_mul_f32_e32 v51, v236, v1
	v_fmac_f32_e32 v21, v100, v2
	s_delay_alu instid0(VALU_DEP_2) | instskip(SKIP_1) | instid1(VALU_DEP_2)
	v_dual_mul_f32 v2, v101, v2 :: v_dual_fmac_f32 v51, v235, v0
	v_mul_f32_e32 v0, v236, v0
	v_fma_f32 v20, v100, v3, -v2
	s_delay_alu instid0(VALU_DEP_2) | instskip(SKIP_4) | instid1(VALU_DEP_2)
	v_fma_f32 v48, v235, v1, -v0
	ds_load_2addr_b64 v[0:3], v64 offset0:74 offset1:199
	s_waitcnt lgkmcnt(0)
	v_mul_f32_e32 v69, v238, v3
	v_mul_f32_e32 v71, v244, v1
	v_fmac_f32_e32 v69, v237, v2
	s_delay_alu instid0(VALU_DEP_2) | instskip(SKIP_1) | instid1(VALU_DEP_2)
	v_dual_mul_f32 v2, v238, v2 :: v_dual_fmac_f32 v71, v243, v0
	v_mul_f32_e32 v0, v244, v0
	v_fma_f32 v68, v237, v3, -v2
	s_delay_alu instid0(VALU_DEP_2)
	v_fma_f32 v70, v243, v1, -v0
	ds_load_2addr_b64 v[0:3], v80 offset0:86 offset1:211
	v_sub_f32_e32 v28, v70, v79
	s_waitcnt lgkmcnt(0)
	v_mul_f32_e32 v67, v242, v3
	v_mul_f32_e32 v41, v221, v1
	s_delay_alu instid0(VALU_DEP_2) | instskip(NEXT) | instid1(VALU_DEP_2)
	v_fmac_f32_e32 v67, v241, v2
	v_dual_mul_f32 v2, v242, v2 :: v_dual_fmac_f32 v41, v220, v0
	v_mul_f32_e32 v0, v221, v0
	s_delay_alu instid0(VALU_DEP_2) | instskip(NEXT) | instid1(VALU_DEP_2)
	v_fma_f32 v66, v241, v3, -v2
	v_fma_f32 v40, v220, v1, -v0
	ds_load_2addr_b64 v[0:3], v83 offset0:98 offset1:223
	v_sub_f32_e32 v83, v67, v78
	v_sub_f32_e32 v85, v66, v76
	s_waitcnt lgkmcnt(0)
	v_dual_mul_f32 v37, v219, v3 :: v_dual_mul_f32 v64, v246, v1
	s_delay_alu instid0(VALU_DEP_1) | instskip(SKIP_1) | instid1(VALU_DEP_3)
	v_fmac_f32_e32 v37, v218, v2
	v_mul_f32_e32 v2, v219, v2
	v_fmac_f32_e32 v64, v245, v0
	v_mul_f32_e32 v0, v246, v0
	s_delay_alu instid0(VALU_DEP_3) | instskip(NEXT) | instid1(VALU_DEP_2)
	v_fma_f32 v36, v218, v3, -v2
	v_fma_f32 v60, v245, v1, -v0
	ds_load_2addr_b64 v[0:3], v52 offset0:92 offset1:217
	s_waitcnt lgkmcnt(0)
	v_dual_mov_b32 v104, v33 :: v_dual_mul_f32 v65, v248, v3
	s_waitcnt vmcnt(0)
	v_mul_f32_e32 v81, v7, v1
	s_delay_alu instid0(VALU_DEP_2) | instskip(NEXT) | instid1(VALU_DEP_2)
	v_fmac_f32_e32 v65, v247, v2
	v_dual_mul_f32 v2, v248, v2 :: v_dual_fmac_f32 v81, v6, v0
	s_delay_alu instid0(VALU_DEP_2) | instskip(NEXT) | instid1(VALU_DEP_2)
	v_dual_mul_f32 v0, v7, v0 :: v_dual_sub_f32 v57, v65, v69
	v_fma_f32 v62, v247, v3, -v2
	s_delay_alu instid0(VALU_DEP_3) | instskip(NEXT) | instid1(VALU_DEP_3)
	v_sub_f32_e32 v99, v81, v71
	v_fma_f32 v80, v6, v1, -v0
	ds_load_2addr_b64 v[0:3], v125 offset0:104 offset1:229
	v_sub_f32_e32 v45, v62, v68
	v_add_f32_e32 v9, v80, v70
	s_waitcnt lgkmcnt(0)
	v_dual_mul_f32 v77, v5, v3 :: v_dual_mul_f32 v26, v234, v1
	s_delay_alu instid0(VALU_DEP_1) | instskip(SKIP_1) | instid1(VALU_DEP_3)
	v_fmac_f32_e32 v77, v4, v2
	v_mul_f32_e32 v2, v5, v2
	v_fmac_f32_e32 v26, v233, v0
	s_delay_alu instid0(VALU_DEP_3) | instskip(NEXT) | instid1(VALU_DEP_3)
	v_dual_mul_f32 v0, v234, v0 :: v_dual_sub_f32 v87, v77, v89
	v_fma_f32 v63, v4, v3, -v2
	s_delay_alu instid0(VALU_DEP_2) | instskip(SKIP_4) | instid1(VALU_DEP_1)
	v_fma_f32 v27, v233, v1, -v0
	ds_load_2addr_b64 v[0:3], v206 offset0:116 offset1:241
	v_sub_f32_e32 v90, v63, v88
	s_waitcnt lgkmcnt(0)
	v_mul_f32_e32 v24, v232, v3
	v_fmac_f32_e32 v24, v231, v2
	v_mul_f32_e32 v2, v232, v2
	s_delay_alu instid0(VALU_DEP_1) | instskip(SKIP_3) | instid1(VALU_DEP_1)
	v_fma_f32 v25, v231, v3, -v2
	scratch_load_b128 v[2:5], off, off offset:532 ; 16-byte Folded Reload
	s_waitcnt vmcnt(0)
	v_mul_f32_e32 v61, v3, v1
	v_fmac_f32_e32 v61, v2, v0
	v_mul_f32_e32 v0, v3, v0
	s_delay_alu instid0(VALU_DEP_1) | instskip(SKIP_3) | instid1(VALU_DEP_1)
	v_fma_f32 v52, v2, v1, -v0
	ds_load_2addr_b64 v[0:3], v34 offset0:110 offset1:235
	s_waitcnt lgkmcnt(0)
	v_mul_f32_e32 v53, v5, v3
	v_fmac_f32_e32 v53, v4, v2
	v_mul_f32_e32 v2, v5, v2
	s_delay_alu instid0(VALU_DEP_1) | instskip(SKIP_4) | instid1(VALU_DEP_1)
	v_fma_f32 v54, v4, v3, -v2
	scratch_load_b128 v[4:7], off, off offset:548 ; 16-byte Folded Reload
	v_sub_f32_e32 v35, v54, v49
	s_waitcnt vmcnt(0)
	v_mul_f32_e32 v55, v7, v1
	v_fmac_f32_e32 v55, v6, v0
	v_dual_mul_f32 v0, v7, v0 :: v_dual_add_f32 v7, v81, v71
	s_delay_alu instid0(VALU_DEP_2) | instskip(NEXT) | instid1(VALU_DEP_2)
	v_sub_f32_e32 v100, v55, v84
	v_fma_f32 v72, v6, v1, -v0
	ds_load_2addr_b64 v[0:3], v210 offset0:122 offset1:247
	v_sub_f32_e32 v96, v80, v70
	v_sub_f32_e32 v97, v72, v79
	s_waitcnt lgkmcnt(0)
	v_mul_f32_e32 v18, v5, v3
	s_delay_alu instid0(VALU_DEP_1) | instskip(SKIP_1) | instid1(VALU_DEP_1)
	v_fmac_f32_e32 v18, v4, v2
	v_mul_f32_e32 v2, v5, v2
	v_fma_f32 v17, v4, v3, -v2
	v_dual_sub_f32 v2, v55, v81 :: v_dual_sub_f32 v3, v84, v71
	s_delay_alu instid0(VALU_DEP_2) | instskip(NEXT) | instid1(VALU_DEP_2)
	v_add_f32_e32 v8, v17, v63
	v_add_f32_e32 v16, v2, v3
	v_dual_sub_f32 v2, v72, v80 :: v_dual_sub_f32 v3, v79, v70
	s_delay_alu instid0(VALU_DEP_1) | instskip(SKIP_1) | instid1(VALU_DEP_2)
	v_dual_add_f32 v8, v8, v66 :: v_dual_add_f32 v19, v2, v3
	v_sub_f32_e32 v2, v77, v67
	v_dual_sub_f32 v3, v89, v78 :: v_dual_add_f32 v8, v8, v76
	s_delay_alu instid0(VALU_DEP_1) | instskip(SKIP_1) | instid1(VALU_DEP_1)
	v_dual_add_f32 v73, v2, v3 :: v_dual_sub_f32 v2, v63, v66
	v_sub_f32_e32 v3, v88, v76
	v_dual_add_f32 v103, v8, v88 :: v_dual_add_f32 v82, v2, v3
	v_add_f32_e32 v2, v67, v78
	s_delay_alu instid0(VALU_DEP_1) | instskip(SKIP_1) | instid1(VALU_DEP_2)
	v_fma_f32 v74, -0.5, v2, v18
	v_add_f32_e32 v2, v66, v76
	v_fmamk_f32 v3, v90, 0xbf737871, v74
	s_delay_alu instid0(VALU_DEP_2) | instskip(SKIP_1) | instid1(VALU_DEP_3)
	v_fma_f32 v75, -0.5, v2, v17
	v_fmac_f32_e32 v74, 0x3f737871, v90
	v_fmac_f32_e32 v3, 0xbf167918, v85
	s_delay_alu instid0(VALU_DEP_3) | instskip(SKIP_1) | instid1(VALU_DEP_4)
	v_fmamk_f32 v2, v87, 0x3f737871, v75
	v_fmac_f32_e32 v75, 0xbf737871, v87
	v_fmac_f32_e32 v74, 0x3f167918, v85
	s_delay_alu instid0(VALU_DEP_4) | instskip(NEXT) | instid1(VALU_DEP_4)
	v_fmac_f32_e32 v3, 0x3e9e377a, v73
	v_fmac_f32_e32 v2, 0x3f167918, v83
	s_delay_alu instid0(VALU_DEP_4) | instskip(NEXT) | instid1(VALU_DEP_4)
	v_fmac_f32_e32 v75, 0xbf167918, v83
	v_fmac_f32_e32 v74, 0x3e9e377a, v73
	s_delay_alu instid0(VALU_DEP_3) | instskip(NEXT) | instid1(VALU_DEP_3)
	v_fmac_f32_e32 v2, 0x3e9e377a, v82
	v_fmac_f32_e32 v75, 0x3e9e377a, v82
	s_delay_alu instid0(VALU_DEP_2) | instskip(NEXT) | instid1(VALU_DEP_1)
	v_mul_f32_e32 v86, 0xbf167918, v2
	v_dual_mul_f32 v91, 0x3f4f1bbd, v2 :: v_dual_fmac_f32 v86, 0x3f4f1bbd, v3
	s_delay_alu instid0(VALU_DEP_1)
	v_fmac_f32_e32 v91, 0x3f167918, v3
	ds_load_2addr_b64 v[2:5], v209 offset1:125
	s_waitcnt lgkmcnt(0)
	s_barrier
	buffer_gl0_inv
	scratch_load_b32 v33, off, off offset:444 ; 4-byte Folded Reload
	v_fma_f32 v93, -0.5, v9, v3
	v_add_f32_e32 v6, v2, v55
	v_fma_f32 v92, -0.5, v7, v2
	v_add_f32_e32 v7, v18, v77
	s_delay_alu instid0(VALU_DEP_4) | instskip(NEXT) | instid1(VALU_DEP_4)
	v_fmamk_f32 v95, v100, 0x3f737871, v93
	v_dual_fmac_f32 v93, 0xbf737871, v100 :: v_dual_add_f32 v6, v6, v81
	s_delay_alu instid0(VALU_DEP_3) | instskip(NEXT) | instid1(VALU_DEP_3)
	v_dual_fmamk_f32 v94, v97, 0xbf737871, v92 :: v_dual_add_f32 v7, v7, v67
	v_fmac_f32_e32 v95, 0x3f167918, v99
	s_delay_alu instid0(VALU_DEP_3) | instskip(NEXT) | instid1(VALU_DEP_4)
	v_fmac_f32_e32 v93, 0xbf167918, v99
	v_add_f32_e32 v6, v6, v71
	s_delay_alu instid0(VALU_DEP_4) | instskip(NEXT) | instid1(VALU_DEP_4)
	v_dual_fmac_f32 v94, 0xbf167918, v96 :: v_dual_add_f32 v7, v7, v78
	v_fmac_f32_e32 v95, 0x3e9e377a, v19
	s_delay_alu instid0(VALU_DEP_4)
	v_fmac_f32_e32 v93, 0x3e9e377a, v19
	scratch_load_b32 v19, off, off offset:308 ; 4-byte Folded Reload
	v_add_f32_e32 v98, v6, v84
	v_add_f32_e32 v6, v3, v72
	;; [unrolled: 1-line block ×3, first 2 shown]
	v_dual_fmac_f32 v94, 0x3e9e377a, v16 :: v_dual_add_f32 v9, v95, v91
	v_fmac_f32_e32 v92, 0x3f737871, v97
	s_delay_alu instid0(VALU_DEP_4) | instskip(NEXT) | instid1(VALU_DEP_3)
	v_add_f32_e32 v6, v6, v80
	v_add_f32_e32 v8, v94, v86
	s_delay_alu instid0(VALU_DEP_3) | instskip(NEXT) | instid1(VALU_DEP_3)
	v_fmac_f32_e32 v92, 0x3f167918, v96
	v_add_f32_e32 v6, v6, v70
	s_delay_alu instid0(VALU_DEP_1) | instskip(SKIP_2) | instid1(VALU_DEP_1)
	v_dual_fmac_f32 v92, 0x3e9e377a, v16 :: v_dual_add_f32 v101, v6, v79
	v_add_f32_e32 v6, v98, v102
	v_mul_f32_e32 v16, 0xbf167918, v75
	v_dual_add_f32 v7, v101, v103 :: v_dual_fmac_f32 v16, 0xbf4f1bbd, v74
	s_waitcnt vmcnt(1)
	ds_store_2addr_b64 v33, v[6:7], v[8:9] offset1:75
	v_dual_sub_f32 v6, v81, v55 :: v_dual_sub_f32 v7, v71, v84
	v_dual_add_f32 v8, v55, v84 :: v_dual_add_f32 v9, v72, v79
	s_delay_alu instid0(VALU_DEP_2) | instskip(SKIP_1) | instid1(VALU_DEP_3)
	v_dual_sub_f32 v55, v53, v50 :: v_dual_add_f32 v6, v6, v7
	v_sub_f32_e32 v7, v80, v72
	v_fma_f32 v8, -0.5, v8, v2
	s_delay_alu instid0(VALU_DEP_4) | instskip(SKIP_1) | instid1(VALU_DEP_3)
	v_fma_f32 v9, -0.5, v9, v3
	v_dual_add_f32 v3, v63, v88 :: v_dual_add_nc_u32 v72, 0x4800, v209
	v_dual_add_f32 v2, v7, v28 :: v_dual_fmamk_f32 v29, v96, 0x3f737871, v8
	v_dual_fmac_f32 v8, 0xbf737871, v96 :: v_dual_add_f32 v7, v77, v89
	s_delay_alu instid0(VALU_DEP_4) | instskip(SKIP_1) | instid1(VALU_DEP_4)
	v_fmamk_f32 v30, v99, 0xbf737871, v9
	v_fmac_f32_e32 v9, 0x3f737871, v99
	v_fmac_f32_e32 v29, 0xbf167918, v97
	s_delay_alu instid0(VALU_DEP_4)
	v_fmac_f32_e32 v8, 0x3f167918, v97
	v_fmac_f32_e32 v18, -0.5, v7
	v_sub_f32_e32 v28, v78, v89
	v_fmac_f32_e32 v30, 0x3f167918, v100
	v_fmac_f32_e32 v29, 0x3e9e377a, v6
	;; [unrolled: 1-line block ×3, first 2 shown]
	v_dual_sub_f32 v6, v67, v77 :: v_dual_fmac_f32 v9, 0xbf167918, v100
	v_fmamk_f32 v7, v85, 0x3f737871, v18
	v_fmac_f32_e32 v18, 0xbf737871, v85
	v_dual_fmac_f32 v30, 0x3e9e377a, v2 :: v_dual_fmac_f32 v17, -0.5, v3
	s_delay_alu instid0(VALU_DEP_4)
	v_dual_fmac_f32 v9, 0x3e9e377a, v2 :: v_dual_add_f32 v2, v6, v28
	v_dual_sub_f32 v3, v66, v63 :: v_dual_sub_f32 v6, v76, v88
	v_fmac_f32_e32 v7, 0xbf167918, v90
	v_fmac_f32_e32 v18, 0x3f167918, v90
	scratch_load_b32 v66, off, off offset:464 ; 4-byte Folded Reload
	v_fmac_f32_e32 v7, 0x3e9e377a, v2
	v_fmac_f32_e32 v18, 0x3e9e377a, v2
	v_add_f32_e32 v2, v3, v6
	v_fmamk_f32 v3, v83, 0xbf737871, v17
	v_fmac_f32_e32 v17, 0x3f737871, v83
	s_delay_alu instid0(VALU_DEP_2) | instskip(NEXT) | instid1(VALU_DEP_2)
	v_fmac_f32_e32 v3, 0x3f167918, v87
	v_fmac_f32_e32 v17, 0xbf167918, v87
	s_delay_alu instid0(VALU_DEP_2) | instskip(NEXT) | instid1(VALU_DEP_2)
	v_fmac_f32_e32 v3, 0x3e9e377a, v2
	v_fmac_f32_e32 v17, 0x3e9e377a, v2
	s_delay_alu instid0(VALU_DEP_2) | instskip(SKIP_1) | instid1(VALU_DEP_3)
	v_mul_f32_e32 v28, 0xbf737871, v3
	v_mul_f32_e32 v31, 0x3e9e377a, v3
	;; [unrolled: 1-line block ×4, first 2 shown]
	s_delay_alu instid0(VALU_DEP_4) | instskip(NEXT) | instid1(VALU_DEP_4)
	v_fmac_f32_e32 v28, 0x3e9e377a, v7
	v_fmac_f32_e32 v31, 0x3f737871, v7
	s_delay_alu instid0(VALU_DEP_4) | instskip(NEXT) | instid1(VALU_DEP_4)
	v_fmac_f32_e32 v32, 0xbe9e377a, v18
	v_fmac_f32_e32 v17, 0x3f737871, v18
	v_mul_f32_e32 v18, 0xbf4f1bbd, v75
	s_delay_alu instid0(VALU_DEP_4) | instskip(NEXT) | instid1(VALU_DEP_3)
	v_dual_add_f32 v2, v29, v28 :: v_dual_add_f32 v3, v30, v31
	v_dual_add_f32 v6, v8, v32 :: v_dual_add_f32 v7, v9, v17
	s_delay_alu instid0(VALU_DEP_3)
	v_fmac_f32_e32 v18, 0x3f167918, v74
	ds_store_2addr_b64 v33, v[2:3], v[6:7] offset0:150 offset1:225
	v_dual_sub_f32 v2, v98, v102 :: v_dual_sub_f32 v3, v101, v103
	v_dual_add_f32 v6, v92, v16 :: v_dual_add_f32 v7, v93, v18
	s_waitcnt vmcnt(1)
	ds_store_2addr_b64 v19, v[6:7], v[2:3] offset0:44 offset1:119
	scratch_load_b32 v19, off, off offset:312 ; 4-byte Folded Reload
	v_dual_sub_f32 v2, v94, v86 :: v_dual_sub_f32 v3, v95, v91
	v_dual_sub_f32 v6, v29, v28 :: v_dual_sub_f32 v7, v30, v31
	v_sub_f32_e32 v30, v60, v39
	v_sub_f32_e32 v31, v48, v42
	v_dual_sub_f32 v28, v64, v38 :: v_dual_sub_f32 v29, v51, v43
	s_waitcnt vmcnt(0)
	ds_store_2addr_b64 v19, v[2:3], v[6:7] offset0:66 offset1:141
	v_sub_f32_e32 v2, v8, v32
	scratch_load_b32 v8, off, off offset:316 ; 4-byte Folded Reload
	v_dual_sub_f32 v3, v9, v17 :: v_dual_sub_f32 v6, v92, v16
	v_sub_f32_e32 v7, v93, v18
	s_waitcnt vmcnt(0)
	ds_store_2addr_b64 v8, v[2:3], v[6:7] offset0:88 offset1:163
	v_sub_f32_e32 v2, v53, v65
	v_sub_f32_e32 v3, v50, v69
	v_add_f32_e32 v7, v62, v68
	v_add_f32_e32 v6, v52, v60
	s_delay_alu instid0(VALU_DEP_3) | instskip(SKIP_1) | instid1(VALU_DEP_4)
	v_add_f32_e32 v8, v2, v3
	v_dual_sub_f32 v2, v54, v62 :: v_dual_sub_f32 v3, v49, v68
	v_fma_f32 v47, -0.5, v7, v5
	s_delay_alu instid0(VALU_DEP_4) | instskip(NEXT) | instid1(VALU_DEP_3)
	v_add_f32_e32 v6, v6, v48
	v_add_f32_e32 v9, v2, v3
	v_sub_f32_e32 v2, v64, v51
	s_delay_alu instid0(VALU_DEP_4) | instskip(NEXT) | instid1(VALU_DEP_4)
	v_dual_sub_f32 v3, v38, v43 :: v_dual_fmamk_f32 v56, v55, 0x3f737871, v47
	v_dual_add_f32 v6, v6, v42 :: v_dual_fmac_f32 v47, 0xbf737871, v55
	s_delay_alu instid0(VALU_DEP_2) | instskip(SKIP_1) | instid1(VALU_DEP_3)
	v_add_f32_e32 v16, v2, v3
	v_dual_sub_f32 v2, v60, v48 :: v_dual_sub_f32 v3, v39, v42
	v_dual_fmac_f32 v56, 0x3f167918, v57 :: v_dual_add_f32 v63, v6, v39
	s_delay_alu instid0(VALU_DEP_4) | instskip(NEXT) | instid1(VALU_DEP_3)
	v_fmac_f32_e32 v47, 0xbf167918, v57
	v_add_f32_e32 v17, v2, v3
	v_add_f32_e32 v2, v51, v43
	s_delay_alu instid0(VALU_DEP_4) | instskip(NEXT) | instid1(VALU_DEP_4)
	v_fmac_f32_e32 v56, 0x3e9e377a, v9
	v_fmac_f32_e32 v47, 0x3e9e377a, v9
	s_delay_alu instid0(VALU_DEP_3) | instskip(NEXT) | instid1(VALU_DEP_1)
	v_fma_f32 v18, -0.5, v2, v61
	v_dual_add_f32 v2, v48, v42 :: v_dual_fmamk_f32 v3, v30, 0xbf737871, v18
	v_fmac_f32_e32 v18, 0x3f737871, v30
	s_delay_alu instid0(VALU_DEP_2) | instskip(NEXT) | instid1(VALU_DEP_3)
	v_fma_f32 v19, -0.5, v2, v52
	v_fmac_f32_e32 v3, 0xbf167918, v31
	s_delay_alu instid0(VALU_DEP_3) | instskip(NEXT) | instid1(VALU_DEP_3)
	v_fmac_f32_e32 v18, 0x3f167918, v31
	v_fmamk_f32 v2, v28, 0x3f737871, v19
	v_fmac_f32_e32 v19, 0xbf737871, v28
	s_delay_alu instid0(VALU_DEP_4) | instskip(NEXT) | instid1(VALU_DEP_4)
	v_fmac_f32_e32 v3, 0x3e9e377a, v16
	v_fmac_f32_e32 v18, 0x3e9e377a, v16
	scratch_load_b32 v16, off, off offset:320 ; 4-byte Folded Reload
	v_fmac_f32_e32 v2, 0x3f167918, v29
	v_fmac_f32_e32 v19, 0xbf167918, v29
	s_delay_alu instid0(VALU_DEP_2) | instskip(NEXT) | instid1(VALU_DEP_2)
	v_fmac_f32_e32 v2, 0x3e9e377a, v17
	v_fmac_f32_e32 v19, 0x3e9e377a, v17
	s_delay_alu instid0(VALU_DEP_2) | instskip(SKIP_1) | instid1(VALU_DEP_3)
	v_mul_f32_e32 v32, 0xbf167918, v2
	v_dual_mul_f32 v33, 0x3f4f1bbd, v2 :: v_dual_add_f32 v2, v4, v53
	v_mul_f32_e32 v9, 0xbf4f1bbd, v19
	s_delay_alu instid0(VALU_DEP_3) | instskip(NEXT) | instid1(VALU_DEP_3)
	v_fmac_f32_e32 v32, 0x3f4f1bbd, v3
	v_dual_fmac_f32 v33, 0x3f167918, v3 :: v_dual_add_f32 v2, v2, v65
	v_add_f32_e32 v3, v65, v69
	s_delay_alu instid0(VALU_DEP_4) | instskip(NEXT) | instid1(VALU_DEP_3)
	v_fmac_f32_e32 v9, 0x3f167918, v18
	v_add_f32_e32 v7, v56, v33
	s_delay_alu instid0(VALU_DEP_4) | instskip(NEXT) | instid1(VALU_DEP_4)
	v_add_f32_e32 v2, v2, v69
	v_fma_f32 v34, -0.5, v3, v4
	s_delay_alu instid0(VALU_DEP_2) | instskip(SKIP_1) | instid1(VALU_DEP_3)
	v_dual_add_f32 v3, v61, v64 :: v_dual_add_f32 v46, v2, v50
	v_add_f32_e32 v2, v5, v54
	v_fmamk_f32 v44, v35, 0xbf737871, v34
	s_delay_alu instid0(VALU_DEP_3) | instskip(SKIP_1) | instid1(VALU_DEP_4)
	v_add_f32_e32 v3, v3, v51
	v_fmac_f32_e32 v34, 0x3f737871, v35
	v_add_f32_e32 v2, v2, v62
	s_delay_alu instid0(VALU_DEP_3) | instskip(NEXT) | instid1(VALU_DEP_3)
	v_dual_fmac_f32 v44, 0xbf167918, v45 :: v_dual_add_f32 v3, v3, v43
	v_fmac_f32_e32 v34, 0x3f167918, v45
	s_delay_alu instid0(VALU_DEP_3) | instskip(NEXT) | instid1(VALU_DEP_3)
	v_add_f32_e32 v2, v2, v68
	v_dual_fmac_f32 v44, 0x3e9e377a, v8 :: v_dual_add_f32 v59, v3, v38
	s_delay_alu instid0(VALU_DEP_3) | instskip(SKIP_1) | instid1(VALU_DEP_4)
	v_fmac_f32_e32 v34, 0x3e9e377a, v8
	v_mul_f32_e32 v8, 0xbf167918, v19
	v_add_f32_e32 v58, v2, v49
	s_delay_alu instid0(VALU_DEP_4) | instskip(SKIP_1) | instid1(VALU_DEP_3)
	v_add_f32_e32 v6, v44, v32
	v_dual_add_f32 v2, v46, v59 :: v_dual_sub_f32 v19, v21, v13
	v_dual_fmac_f32 v8, 0xbf4f1bbd, v18 :: v_dual_add_f32 v3, v58, v63
	ds_store_2addr_b64 v66, v[2:3], v[6:7] offset1:75
	v_dual_add_f32 v6, v53, v50 :: v_dual_add_f32 v7, v54, v49
	v_sub_f32_e32 v2, v65, v53
	v_sub_f32_e32 v3, v69, v50
	;; [unrolled: 1-line block ×3, first 2 shown]
	s_delay_alu instid0(VALU_DEP_4) | instskip(SKIP_1) | instid1(VALU_DEP_4)
	v_fma_f32 v4, -0.5, v6, v4
	v_dual_fmac_f32 v5, -0.5, v7 :: v_dual_add_f32 v6, v64, v38
	v_add_f32_e32 v2, v2, v3
	s_delay_alu instid0(VALU_DEP_3) | instskip(NEXT) | instid1(VALU_DEP_3)
	v_dual_sub_f32 v3, v62, v54 :: v_dual_fmamk_f32 v50, v45, 0x3f737871, v4
	v_dual_fmac_f32 v4, 0xbf737871, v45 :: v_dual_fmac_f32 v61, -0.5, v6
	s_delay_alu instid0(VALU_DEP_4) | instskip(NEXT) | instid1(VALU_DEP_3)
	v_dual_sub_f32 v7, v43, v38 :: v_dual_fmamk_f32 v38, v57, 0xbf737871, v5
	v_fmac_f32_e32 v50, 0xbf167918, v35
	s_delay_alu instid0(VALU_DEP_3) | instskip(SKIP_1) | instid1(VALU_DEP_4)
	v_fmac_f32_e32 v4, 0x3f167918, v35
	v_dual_fmac_f32 v5, 0x3f737871, v57 :: v_dual_sub_f32 v6, v42, v39
	v_fmac_f32_e32 v38, 0x3f167918, v55
	s_delay_alu instid0(VALU_DEP_4) | instskip(NEXT) | instid1(VALU_DEP_4)
	v_fmac_f32_e32 v50, 0x3e9e377a, v2
	v_fmac_f32_e32 v4, 0x3e9e377a, v2
	v_add_f32_e32 v2, v3, v49
	v_sub_f32_e32 v3, v51, v64
	v_fmac_f32_e32 v5, 0xbf167918, v55
	v_sub_f32_e32 v35, v40, v22
	s_delay_alu instid0(VALU_DEP_4) | instskip(NEXT) | instid1(VALU_DEP_3)
	v_fmac_f32_e32 v38, 0x3e9e377a, v2
	v_dual_fmac_f32 v5, 0x3e9e377a, v2 :: v_dual_add_f32 v2, v3, v7
	v_add_f32_e32 v3, v60, v39
	v_fmamk_f32 v7, v31, 0x3f737871, v61
	v_dual_fmac_f32 v61, 0xbf737871, v31 :: v_dual_sub_f32 v18, v37, v10
	s_delay_alu instid0(VALU_DEP_3) | instskip(NEXT) | instid1(VALU_DEP_3)
	v_dual_fmac_f32 v52, -0.5, v3 :: v_dual_sub_f32 v3, v48, v60
	v_fmac_f32_e32 v7, 0xbf167918, v30
	s_delay_alu instid0(VALU_DEP_3) | instskip(NEXT) | instid1(VALU_DEP_2)
	v_fmac_f32_e32 v61, 0x3f167918, v30
	v_fmac_f32_e32 v7, 0x3e9e377a, v2
	s_delay_alu instid0(VALU_DEP_2) | instskip(SKIP_2) | instid1(VALU_DEP_2)
	v_fmac_f32_e32 v61, 0x3e9e377a, v2
	v_dual_add_f32 v2, v3, v6 :: v_dual_fmamk_f32 v3, v29, 0xbf737871, v52
	v_dual_fmac_f32 v52, 0x3f737871, v29 :: v_dual_sub_f32 v29, v20, v12
	v_fmac_f32_e32 v3, 0x3f167918, v28
	s_delay_alu instid0(VALU_DEP_2) | instskip(NEXT) | instid1(VALU_DEP_2)
	v_fmac_f32_e32 v52, 0xbf167918, v28
	v_dual_sub_f32 v28, v36, v11 :: v_dual_fmac_f32 v3, 0x3e9e377a, v2
	s_delay_alu instid0(VALU_DEP_2) | instskip(NEXT) | instid1(VALU_DEP_2)
	v_fmac_f32_e32 v52, 0x3e9e377a, v2
	v_mul_f32_e32 v39, 0xbf737871, v3
	v_mul_f32_e32 v42, 0x3e9e377a, v3
	s_delay_alu instid0(VALU_DEP_3) | instskip(SKIP_1) | instid1(VALU_DEP_4)
	v_mul_f32_e32 v43, 0xbf737871, v52
	v_mul_f32_e32 v48, 0xbe9e377a, v52
	v_fmac_f32_e32 v39, 0x3e9e377a, v7
	s_delay_alu instid0(VALU_DEP_4) | instskip(NEXT) | instid1(VALU_DEP_4)
	v_fmac_f32_e32 v42, 0x3f737871, v7
	v_fmac_f32_e32 v43, 0xbe9e377a, v61
	s_delay_alu instid0(VALU_DEP_4) | instskip(NEXT) | instid1(VALU_DEP_4)
	v_fmac_f32_e32 v48, 0x3f737871, v61
	v_add_f32_e32 v2, v50, v39
	s_delay_alu instid0(VALU_DEP_3) | instskip(NEXT) | instid1(VALU_DEP_3)
	v_dual_add_f32 v3, v38, v42 :: v_dual_add_f32 v6, v4, v43
	v_add_f32_e32 v7, v5, v48
	ds_store_2addr_b64 v66, v[2:3], v[6:7] offset0:150 offset1:225
	v_sub_f32_e32 v2, v46, v59
	v_sub_f32_e32 v3, v58, v63
	v_dual_add_f32 v6, v34, v8 :: v_dual_add_f32 v7, v47, v9
	s_waitcnt vmcnt(0)
	ds_store_2addr_b64 v16, v[6:7], v[2:3] offset0:44 offset1:119
	scratch_load_b32 v16, off, off offset:324 ; 4-byte Folded Reload
	v_sub_f32_e32 v2, v44, v32
	v_dual_sub_f32 v3, v56, v33 :: v_dual_sub_f32 v6, v50, v39
	v_sub_f32_e32 v7, v38, v42
	v_dual_sub_f32 v33, v27, v14 :: v_dual_sub_f32 v44, v41, v23
	s_waitcnt vmcnt(0)
	ds_store_2addr_b64 v16, v[2:3], v[6:7] offset0:66 offset1:141
	scratch_load_b32 v6, off, off offset:328 ; 4-byte Folded Reload
	v_sub_f32_e32 v3, v5, v48
	scratch_load_b32 v48, off, off offset:488 ; 4-byte Folded Reload
	v_sub_f32_e32 v2, v4, v43
	v_dual_sub_f32 v4, v34, v8 :: v_dual_sub_f32 v5, v47, v9
	s_waitcnt vmcnt(1)
	ds_store_2addr_b64 v6, v[2:3], v[4:5] offset0:88 offset1:163
	v_dual_sub_f32 v2, v26, v41 :: v_dual_sub_f32 v3, v15, v23
	v_dual_add_f32 v5, v40, v22 :: v_dual_add_f32 v4, v25, v36
	s_delay_alu instid0(VALU_DEP_2) | instskip(SKIP_1) | instid1(VALU_DEP_3)
	v_add_f32_e32 v6, v2, v3
	v_dual_sub_f32 v2, v27, v40 :: v_dual_sub_f32 v3, v14, v22
	v_fma_f32 v39, -0.5, v5, v1
	v_sub_f32_e32 v42, v26, v15
	s_delay_alu instid0(VALU_DEP_3) | instskip(SKIP_2) | instid1(VALU_DEP_3)
	v_dual_add_f32 v4, v4, v20 :: v_dual_add_f32 v7, v2, v3
	v_sub_f32_e32 v2, v37, v21
	v_sub_f32_e32 v3, v10, v13
	v_dual_fmamk_f32 v43, v42, 0x3f737871, v39 :: v_dual_add_f32 v4, v4, v12
	s_delay_alu instid0(VALU_DEP_2) | instskip(SKIP_2) | instid1(VALU_DEP_4)
	v_dual_fmac_f32 v39, 0xbf737871, v42 :: v_dual_add_f32 v8, v2, v3
	v_sub_f32_e32 v2, v36, v20
	v_sub_f32_e32 v3, v11, v12
	v_fmac_f32_e32 v43, 0x3f167918, v44
	v_add_f32_e32 v47, v4, v11
	v_fmac_f32_e32 v39, 0xbf167918, v44
	s_delay_alu instid0(VALU_DEP_4) | instskip(NEXT) | instid1(VALU_DEP_4)
	v_dual_add_f32 v9, v2, v3 :: v_dual_add_f32 v2, v21, v13
	v_fmac_f32_e32 v43, 0x3e9e377a, v7
	s_delay_alu instid0(VALU_DEP_3) | instskip(NEXT) | instid1(VALU_DEP_3)
	v_fmac_f32_e32 v39, 0x3e9e377a, v7
	v_fma_f32 v16, -0.5, v2, v24
	v_add_f32_e32 v2, v20, v12
	s_delay_alu instid0(VALU_DEP_2) | instskip(SKIP_1) | instid1(VALU_DEP_3)
	v_fmamk_f32 v3, v28, 0xbf737871, v16
	v_fmac_f32_e32 v16, 0x3f737871, v28
	v_fma_f32 v17, -0.5, v2, v25
	s_delay_alu instid0(VALU_DEP_3) | instskip(NEXT) | instid1(VALU_DEP_3)
	v_fmac_f32_e32 v3, 0xbf167918, v29
	v_fmac_f32_e32 v16, 0x3f167918, v29
	s_delay_alu instid0(VALU_DEP_3) | instskip(SKIP_1) | instid1(VALU_DEP_4)
	v_fmamk_f32 v2, v18, 0x3f737871, v17
	v_fmac_f32_e32 v17, 0xbf737871, v18
	v_fmac_f32_e32 v3, 0x3e9e377a, v8
	s_delay_alu instid0(VALU_DEP_4) | instskip(SKIP_3) | instid1(VALU_DEP_2)
	v_fmac_f32_e32 v16, 0x3e9e377a, v8
	scratch_load_b32 v8, off, off offset:332 ; 4-byte Folded Reload
	v_fmac_f32_e32 v2, 0x3f167918, v19
	v_fmac_f32_e32 v17, 0xbf167918, v19
	;; [unrolled: 1-line block ×3, first 2 shown]
	s_delay_alu instid0(VALU_DEP_2) | instskip(NEXT) | instid1(VALU_DEP_2)
	v_fmac_f32_e32 v17, 0x3e9e377a, v9
	v_mul_f32_e32 v30, 0xbf167918, v2
	v_mul_f32_e32 v31, 0x3f4f1bbd, v2
	s_delay_alu instid0(VALU_DEP_3) | instskip(NEXT) | instid1(VALU_DEP_3)
	v_dual_add_f32 v2, v0, v26 :: v_dual_mul_f32 v7, 0xbf4f1bbd, v17
	v_fmac_f32_e32 v30, 0x3f4f1bbd, v3
	s_delay_alu instid0(VALU_DEP_2) | instskip(SKIP_1) | instid1(VALU_DEP_4)
	v_dual_fmac_f32 v31, 0x3f167918, v3 :: v_dual_add_f32 v2, v2, v41
	v_add_f32_e32 v3, v41, v23
	v_fmac_f32_e32 v7, 0x3f167918, v16
	s_delay_alu instid0(VALU_DEP_3) | instskip(NEXT) | instid1(VALU_DEP_4)
	v_add_f32_e32 v5, v43, v31
	v_add_f32_e32 v2, v2, v23
	s_delay_alu instid0(VALU_DEP_4) | instskip(NEXT) | instid1(VALU_DEP_2)
	v_fma_f32 v32, -0.5, v3, v0
	v_dual_add_f32 v3, v24, v37 :: v_dual_add_f32 v38, v2, v15
	v_add_f32_e32 v2, v1, v27
	s_delay_alu instid0(VALU_DEP_2) | instskip(SKIP_1) | instid1(VALU_DEP_3)
	v_dual_fmamk_f32 v34, v33, 0xbf737871, v32 :: v_dual_add_f32 v3, v3, v21
	v_fmac_f32_e32 v32, 0x3f737871, v33
	v_add_f32_e32 v2, v2, v40
	s_delay_alu instid0(VALU_DEP_3) | instskip(NEXT) | instid1(VALU_DEP_3)
	v_dual_fmac_f32 v34, 0xbf167918, v35 :: v_dual_add_f32 v3, v3, v13
	v_fmac_f32_e32 v32, 0x3f167918, v35
	s_delay_alu instid0(VALU_DEP_3) | instskip(NEXT) | instid1(VALU_DEP_3)
	v_add_f32_e32 v2, v2, v22
	v_fmac_f32_e32 v34, 0x3e9e377a, v6
	s_delay_alu instid0(VALU_DEP_4) | instskip(NEXT) | instid1(VALU_DEP_4)
	v_add_f32_e32 v46, v3, v10
	v_fmac_f32_e32 v32, 0x3e9e377a, v6
	s_delay_alu instid0(VALU_DEP_4) | instskip(NEXT) | instid1(VALU_DEP_4)
	v_dual_mul_f32 v6, 0xbf167918, v17 :: v_dual_add_f32 v45, v2, v14
	v_add_f32_e32 v4, v34, v30
	s_delay_alu instid0(VALU_DEP_4) | instskip(NEXT) | instid1(VALU_DEP_3)
	v_add_f32_e32 v2, v38, v46
	v_dual_fmac_f32 v6, 0xbf4f1bbd, v16 :: v_dual_add_f32 v3, v45, v47
	s_waitcnt vmcnt(1)
	ds_store_2addr_b64 v48, v[2:3], v[4:5] offset1:75
	v_dual_add_f32 v4, v26, v15 :: v_dual_add_f32 v5, v27, v14
	v_dual_sub_f32 v2, v41, v26 :: v_dual_sub_f32 v3, v23, v15
	v_sub_f32_e32 v14, v22, v14
	s_delay_alu instid0(VALU_DEP_3) | instskip(NEXT) | instid1(VALU_DEP_4)
	v_fma_f32 v0, -0.5, v4, v0
	v_dual_fmac_f32 v1, -0.5, v5 :: v_dual_add_f32 v4, v37, v10
	s_delay_alu instid0(VALU_DEP_4) | instskip(SKIP_1) | instid1(VALU_DEP_4)
	v_add_f32_e32 v2, v2, v3
	v_sub_f32_e32 v3, v40, v27
	v_fmamk_f32 v15, v35, 0x3f737871, v0
	v_dual_fmac_f32 v0, 0xbf737871, v35 :: v_dual_sub_f32 v5, v13, v10
	v_fmamk_f32 v10, v44, 0xbf737871, v1
	v_fmac_f32_e32 v1, 0x3f737871, v44
	s_delay_alu instid0(VALU_DEP_4) | instskip(NEXT) | instid1(VALU_DEP_4)
	v_fmac_f32_e32 v15, 0xbf167918, v33
	v_fmac_f32_e32 v0, 0x3f167918, v33
	v_fmac_f32_e32 v24, -0.5, v4
	v_fmac_f32_e32 v10, 0x3f167918, v42
	v_fmac_f32_e32 v1, 0xbf167918, v42
	;; [unrolled: 1-line block ×4, first 2 shown]
	v_dual_add_f32 v2, v3, v14 :: v_dual_sub_f32 v3, v21, v37
	v_sub_f32_e32 v4, v12, v11
	s_delay_alu instid0(VALU_DEP_2) | instskip(NEXT) | instid1(VALU_DEP_3)
	v_fmac_f32_e32 v10, 0x3e9e377a, v2
	v_dual_fmac_f32 v1, 0x3e9e377a, v2 :: v_dual_add_f32 v2, v3, v5
	v_add_f32_e32 v3, v36, v11
	v_fmamk_f32 v5, v29, 0x3f737871, v24
	s_delay_alu instid0(VALU_DEP_2) | instskip(SKIP_1) | instid1(VALU_DEP_3)
	v_dual_fmac_f32 v24, 0xbf737871, v29 :: v_dual_fmac_f32 v25, -0.5, v3
	v_sub_f32_e32 v3, v20, v36
	v_fmac_f32_e32 v5, 0xbf167918, v28
	s_delay_alu instid0(VALU_DEP_3) | instskip(NEXT) | instid1(VALU_DEP_2)
	v_fmac_f32_e32 v24, 0x3f167918, v28
	v_fmac_f32_e32 v5, 0x3e9e377a, v2
	s_delay_alu instid0(VALU_DEP_2) | instskip(SKIP_3) | instid1(VALU_DEP_2)
	v_fmac_f32_e32 v24, 0x3e9e377a, v2
	v_add_f32_e32 v2, v3, v4
	v_fmamk_f32 v3, v19, 0xbf737871, v25
	v_fmac_f32_e32 v25, 0x3f737871, v19
	v_fmac_f32_e32 v3, 0x3f167918, v18
	s_delay_alu instid0(VALU_DEP_2) | instskip(NEXT) | instid1(VALU_DEP_2)
	v_fmac_f32_e32 v25, 0xbf167918, v18
	v_fmac_f32_e32 v3, 0x3e9e377a, v2
	s_delay_alu instid0(VALU_DEP_2) | instskip(NEXT) | instid1(VALU_DEP_2)
	v_fmac_f32_e32 v25, 0x3e9e377a, v2
	v_mul_f32_e32 v11, 0xbf737871, v3
	v_mul_f32_e32 v12, 0x3e9e377a, v3
	s_delay_alu instid0(VALU_DEP_3) | instskip(SKIP_1) | instid1(VALU_DEP_4)
	v_mul_f32_e32 v13, 0xbf737871, v25
	v_mul_f32_e32 v14, 0xbe9e377a, v25
	v_fmac_f32_e32 v11, 0x3e9e377a, v5
	s_delay_alu instid0(VALU_DEP_4) | instskip(NEXT) | instid1(VALU_DEP_4)
	v_fmac_f32_e32 v12, 0x3f737871, v5
	v_fmac_f32_e32 v13, 0xbe9e377a, v24
	s_delay_alu instid0(VALU_DEP_4) | instskip(NEXT) | instid1(VALU_DEP_3)
	v_fmac_f32_e32 v14, 0x3f737871, v24
	v_dual_add_f32 v2, v15, v11 :: v_dual_add_f32 v3, v10, v12
	s_delay_alu instid0(VALU_DEP_2)
	v_dual_add_f32 v4, v0, v13 :: v_dual_add_f32 v5, v1, v14
	v_dual_sub_f32 v1, v1, v14 :: v_dual_sub_f32 v0, v0, v13
	ds_store_2addr_b64 v48, v[2:3], v[4:5] offset0:150 offset1:225
	v_dual_sub_f32 v2, v38, v46 :: v_dual_sub_f32 v3, v45, v47
	v_dual_add_f32 v4, v32, v6 :: v_dual_add_f32 v5, v39, v7
	s_waitcnt vmcnt(0)
	ds_store_2addr_b64 v8, v[4:5], v[2:3] offset0:44 offset1:119
	scratch_load_b32 v8, off, off offset:336 ; 4-byte Folded Reload
	v_dual_sub_f32 v2, v34, v30 :: v_dual_sub_f32 v3, v43, v31
	v_dual_sub_f32 v4, v15, v11 :: v_dual_sub_f32 v5, v10, v12
	s_waitcnt vmcnt(0)
	ds_store_2addr_b64 v8, v[2:3], v[4:5] offset0:66 offset1:141
	scratch_load_b32 v4, off, off offset:340 ; 4-byte Folded Reload
	v_dual_sub_f32 v2, v32, v6 :: v_dual_sub_f32 v3, v39, v7
	s_waitcnt vmcnt(0)
	ds_store_2addr_b64 v4, v[0:1], v[2:3] offset0:88 offset1:163
	s_waitcnt lgkmcnt(0)
	s_barrier
	buffer_gl0_inv
	scratch_load_b128 v[8:11], off, off offset:428 ; 16-byte Folded Reload
	ds_load_2addr_b64 v[0:3], v105 offset0:110 offset1:235
	ds_load_2addr_b64 v[4:7], v222 offset0:92 offset1:217
	;; [unrolled: 1-line block ×4, first 2 shown]
	s_waitcnt lgkmcnt(3)
	v_mul_f32_e32 v48, v250, v1
	s_waitcnt lgkmcnt(2)
	v_mul_f32_e32 v49, v252, v5
	;; [unrolled: 2-line block ×3, first 2 shown]
	v_mul_f32_e32 v18, v179, v55
	v_fmac_f32_e32 v48, v249, v0
	v_mul_f32_e32 v0, v250, v0
	s_delay_alu instid0(VALU_DEP_4) | instskip(NEXT) | instid1(VALU_DEP_4)
	v_fmac_f32_e32 v20, v170, v56
	v_dual_fmac_f32 v49, v251, v4 :: v_dual_fmac_f32 v18, v178, v54
	s_delay_alu instid0(VALU_DEP_3) | instskip(SKIP_1) | instid1(VALU_DEP_1)
	v_fma_f32 v50, v249, v1, -v0
	v_mul_f32_e32 v0, v252, v4
	v_fma_f32 v51, v251, v5, -v0
	s_waitcnt vmcnt(0)
	v_mul_f32_e32 v0, v9, v2
	v_mul_f32_e32 v36, v9, v3
	;; [unrolled: 1-line block ×3, first 2 shown]
	s_delay_alu instid0(VALU_DEP_3) | instskip(SKIP_1) | instid1(VALU_DEP_4)
	v_fma_f32 v37, v8, v3, -v0
	v_mul_f32_e32 v0, v11, v6
	v_fmac_f32_e32 v36, v8, v2
	s_delay_alu instid0(VALU_DEP_4) | instskip(NEXT) | instid1(VALU_DEP_3)
	v_fmac_f32_e32 v38, v10, v6
	v_fma_f32 v39, v10, v7, -v0
	scratch_load_b128 v[6:9], off, off offset:364 ; 16-byte Folded Reload
	ds_load_2addr_b64 v[0:3], v124 offset0:74 offset1:199
	s_waitcnt vmcnt(0) lgkmcnt(0)
	v_mul_f32_e32 v46, v7, v1
	s_delay_alu instid0(VALU_DEP_1) | instskip(NEXT) | instid1(VALU_DEP_1)
	v_fmac_f32_e32 v46, v6, v0
	v_dual_mul_f32 v0, v7, v0 :: v_dual_sub_f32 v65, v49, v46
	s_delay_alu instid0(VALU_DEP_1) | instskip(SKIP_4) | instid1(VALU_DEP_2)
	v_fma_f32 v52, v6, v1, -v0
	ds_load_2addr_b64 v[4:7], v230 offset0:56 offset1:181
	s_waitcnt lgkmcnt(0)
	v_dual_sub_f32 v62, v51, v52 :: v_dual_mul_f32 v47, v9, v5
	v_mul_f32_e32 v0, v9, v4
	v_fmac_f32_e32 v47, v8, v4
	s_delay_alu instid0(VALU_DEP_2)
	v_fma_f32 v53, v8, v5, -v0
	scratch_load_b128 v[8:11], off, off offset:344 ; 16-byte Folded Reload
	v_dual_sub_f32 v64, v48, v47 :: v_dual_sub_f32 v63, v50, v53
	s_waitcnt vmcnt(0)
	v_mul_f32_e32 v0, v9, v2
	v_mul_f32_e32 v34, v9, v3
	;; [unrolled: 1-line block ×4, first 2 shown]
	s_delay_alu instid0(VALU_DEP_4) | instskip(SKIP_4) | instid1(VALU_DEP_4)
	v_fma_f32 v35, v8, v3, -v0
	v_mul_f32_e32 v0, v11, v6
	v_fmac_f32_e32 v34, v8, v2
	v_fmac_f32_e32 v40, v10, v6
	;; [unrolled: 1-line block ×3, first 2 shown]
	v_fma_f32 v45, v10, v7, -v0
	ds_load_2addr_b64 v[0:3], v125 offset0:104 offset1:229
	ds_load_2addr_b64 v[4:7], v239 offset0:86 offset1:211
	s_waitcnt lgkmcnt(1)
	v_mul_f32_e32 v27, v165, v1
	v_mul_f32_e32 v22, v185, v3
	s_waitcnt lgkmcnt(0)
	v_mul_f32_e32 v30, v167, v5
	v_mul_f32_e32 v25, v187, v7
	v_fmac_f32_e32 v27, v164, v0
	v_mul_f32_e32 v0, v165, v0
	v_fmac_f32_e32 v22, v184, v2
	v_fmac_f32_e32 v30, v166, v4
	;; [unrolled: 1-line block ×3, first 2 shown]
	s_delay_alu instid0(VALU_DEP_4) | instskip(SKIP_1) | instid1(VALU_DEP_1)
	v_fma_f32 v29, v164, v1, -v0
	v_mul_f32_e32 v0, v167, v4
	v_fma_f32 v33, v166, v5, -v0
	v_mul_f32_e32 v0, v185, v2
	s_delay_alu instid0(VALU_DEP_1) | instskip(SKIP_1) | instid1(VALU_DEP_1)
	v_fma_f32 v23, v184, v3, -v0
	v_mul_f32_e32 v0, v187, v6
	v_fma_f32 v24, v186, v7, -v0
	ds_load_2addr_b64 v[0:3], v229 offset0:68 offset1:193
	ds_load_2addr_b64 v[4:7], v104 offset0:50 offset1:175
	s_waitcnt lgkmcnt(1)
	v_mul_f32_e32 v41, v161, v1
	v_mul_f32_e32 v26, v173, v3
	s_waitcnt lgkmcnt(0)
	v_mul_f32_e32 v32, v175, v7
	v_mul_f32_e32 v43, v163, v5
	v_fmac_f32_e32 v41, v160, v0
	v_mul_f32_e32 v0, v161, v0
	v_fmac_f32_e32 v26, v172, v2
	v_fmac_f32_e32 v32, v174, v6
	;; [unrolled: 1-line block ×3, first 2 shown]
	v_sub_f32_e32 v68, v30, v41
	v_fma_f32 v42, v160, v1, -v0
	v_mul_f32_e32 v0, v163, v4
	s_delay_alu instid0(VALU_DEP_4) | instskip(NEXT) | instid1(VALU_DEP_2)
	v_dual_add_f32 v4, v49, v46 :: v_dual_sub_f32 v69, v27, v43
	v_fma_f32 v44, v162, v5, -v0
	v_dual_mul_f32 v0, v173, v2 :: v_dual_add_f32 v5, v51, v52
	s_delay_alu instid0(VALU_DEP_1) | instskip(SKIP_1) | instid1(VALU_DEP_1)
	v_fma_f32 v28, v172, v3, -v0
	v_mul_f32_e32 v0, v175, v6
	v_fma_f32 v31, v174, v7, -v0
	ds_load_2addr_b64 v[0:3], v203 offset0:98 offset1:223
	s_waitcnt lgkmcnt(0)
	v_mul_f32_e32 v7, v189, v1
	s_delay_alu instid0(VALU_DEP_1) | instskip(SKIP_1) | instid1(VALU_DEP_2)
	v_dual_mul_f32 v6, v181, v3 :: v_dual_fmac_f32 v7, v188, v0
	v_mul_f32_e32 v0, v189, v0
	v_fmac_f32_e32 v6, v180, v2
	s_delay_alu instid0(VALU_DEP_2) | instskip(SKIP_2) | instid1(VALU_DEP_2)
	v_fma_f32 v8, v188, v1, -v0
	v_mul_f32_e32 v0, v191, v12
	v_mul_f32_e32 v12, v183, v15
	v_fma_f32 v13, v190, v13, -v0
	v_mul_f32_e32 v0, v181, v2
	s_delay_alu instid0(VALU_DEP_3) | instskip(NEXT) | instid1(VALU_DEP_2)
	v_fmac_f32_e32 v12, v182, v14
	v_fma_f32 v10, v180, v3, -v0
	v_mul_f32_e32 v0, v183, v14
	s_delay_alu instid0(VALU_DEP_1) | instskip(SKIP_3) | instid1(VALU_DEP_1)
	v_fma_f32 v11, v182, v15, -v0
	ds_load_2addr_b64 v[0:3], v255 offset0:62 offset1:187
	s_waitcnt lgkmcnt(0)
	v_mul_f32_e32 v15, v177, v1
	v_dual_mul_f32 v14, v169, v3 :: v_dual_fmac_f32 v15, v176, v0
	v_mul_f32_e32 v0, v177, v0
	s_delay_alu instid0(VALU_DEP_2) | instskip(NEXT) | instid1(VALU_DEP_2)
	v_fmac_f32_e32 v14, v168, v2
	v_fma_f32 v16, v176, v1, -v0
	v_mul_f32_e32 v0, v179, v54
	v_sub_f32_e32 v1, v47, v46
	s_delay_alu instid0(VALU_DEP_2) | instskip(SKIP_1) | instid1(VALU_DEP_1)
	v_fma_f32 v19, v178, v55, -v0
	v_dual_mul_f32 v0, v169, v2 :: v_dual_sub_f32 v55, v50, v51
	v_fma_f32 v17, v168, v3, -v0
	v_mul_f32_e32 v0, v171, v56
	v_sub_f32_e32 v56, v53, v52
	s_delay_alu instid0(VALU_DEP_2) | instskip(NEXT) | instid1(VALU_DEP_2)
	v_fma_f32 v21, v170, v57, -v0
	v_dual_sub_f32 v0, v48, v49 :: v_dual_add_f32 v55, v55, v56
	s_delay_alu instid0(VALU_DEP_1)
	v_add_f32_e32 v54, v0, v1
	ds_load_2addr_b64 v[0:3], v209 offset1:125
	s_waitcnt lgkmcnt(0)
	v_dual_add_f32 v57, v1, v50 :: v_dual_add_f32 v56, v0, v48
	v_fma_f32 v4, -0.5, v4, v0
	v_fma_f32 v5, -0.5, v5, v1
	s_delay_alu instid0(VALU_DEP_3) | instskip(SKIP_1) | instid1(VALU_DEP_2)
	v_dual_add_f32 v57, v57, v51 :: v_dual_add_f32 v56, v56, v49
	v_dual_sub_f32 v51, v51, v50 :: v_dual_add_f32 v50, v50, v53
	v_dual_fmamk_f32 v58, v63, 0xbf737871, v4 :: v_dual_add_f32 v57, v57, v52
	v_sub_f32_e32 v52, v52, v53
	s_delay_alu instid0(VALU_DEP_4) | instskip(NEXT) | instid1(VALU_DEP_4)
	v_add_f32_e32 v56, v56, v46
	v_fma_f32 v1, -0.5, v50, v1
	v_fmamk_f32 v59, v64, 0x3f737871, v5
	v_add_f32_e32 v57, v57, v53
	v_add_f32_e32 v53, v48, v47
	;; [unrolled: 1-line block ×3, first 2 shown]
	v_dual_sub_f32 v48, v49, v48 :: v_dual_sub_f32 v47, v46, v47
	v_fmamk_f32 v61, v65, 0xbf737871, v1
	s_delay_alu instid0(VALU_DEP_4) | instskip(SKIP_1) | instid1(VALU_DEP_4)
	v_fma_f32 v0, -0.5, v53, v0
	v_dual_fmac_f32 v1, 0x3f737871, v65 :: v_dual_fmac_f32 v4, 0x3f737871, v63
	v_dual_fmac_f32 v5, 0xbf737871, v64 :: v_dual_add_f32 v66, v48, v47
	s_delay_alu instid0(VALU_DEP_3) | instskip(SKIP_3) | instid1(VALU_DEP_4)
	v_fmamk_f32 v60, v62, 0x3f737871, v0
	v_dual_fmac_f32 v0, 0xbf737871, v62 :: v_dual_add_f32 v67, v51, v52
	v_fmac_f32_e32 v58, 0xbf167918, v62
	v_fmac_f32_e32 v59, 0x3f167918, v65
	;; [unrolled: 1-line block ×3, first 2 shown]
	s_delay_alu instid0(VALU_DEP_4)
	v_dual_fmac_f32 v61, 0x3f167918, v64 :: v_dual_fmac_f32 v0, 0x3f167918, v63
	v_fmac_f32_e32 v1, 0xbf167918, v64
	v_fmac_f32_e32 v4, 0x3f167918, v62
	;; [unrolled: 1-line block ×3, first 2 shown]
	v_dual_fmac_f32 v58, 0x3e9e377a, v54 :: v_dual_fmac_f32 v59, 0x3e9e377a, v55
	v_dual_fmac_f32 v60, 0x3e9e377a, v66 :: v_dual_fmac_f32 v61, 0x3e9e377a, v67
	;; [unrolled: 1-line block ×3, first 2 shown]
	s_delay_alu instid0(VALU_DEP_4)
	v_dual_fmac_f32 v4, 0x3e9e377a, v54 :: v_dual_fmac_f32 v5, 0x3e9e377a, v55
	ds_load_2addr_b64 v[46:49], v210 offset0:122 offset1:247
	ds_load_2addr_b64 v[50:53], v206 offset0:116 offset1:241
	ds_store_b64 v209, v[58:59] offset:6000
	ds_store_b64 v209, v[60:61] offset:12000
	;; [unrolled: 1-line block ×4, first 2 shown]
	v_dual_add_f32 v0, v2, v36 :: v_dual_add_f32 v1, v3, v37
	v_dual_sub_f32 v4, v34, v40 :: v_dual_sub_f32 v5, v35, v45
	v_sub_f32_e32 v54, v33, v29
	s_delay_alu instid0(VALU_DEP_3) | instskip(SKIP_2) | instid1(VALU_DEP_3)
	v_dual_add_f32 v0, v0, v38 :: v_dual_add_f32 v1, v1, v39
	v_dual_sub_f32 v55, v42, v44 :: v_dual_sub_f32 v62, v39, v35
	v_sub_f32_e32 v64, v38, v34
	v_dual_add_f32 v0, v0, v34 :: v_dual_add_f32 v1, v1, v35
	s_delay_alu instid0(VALU_DEP_3) | instskip(NEXT) | instid1(VALU_DEP_2)
	v_dual_sub_f32 v66, v33, v42 :: v_dual_add_f32 v61, v54, v55
	v_dual_sub_f32 v63, v37, v45 :: v_dual_add_f32 v0, v0, v40
	s_delay_alu instid0(VALU_DEP_3) | instskip(SKIP_4) | instid1(VALU_DEP_1)
	v_add_f32_e32 v1, v1, v45
	v_sub_f32_e32 v65, v36, v40
	v_sub_f32_e32 v67, v29, v44
	ds_store_2addr_b64 v209, v[56:57], v[0:1] offset1:125
	v_dual_add_f32 v0, v38, v34 :: v_dual_add_f32 v1, v36, v40
	v_fma_f32 v0, -0.5, v0, v2
	s_delay_alu instid0(VALU_DEP_2) | instskip(SKIP_1) | instid1(VALU_DEP_2)
	v_fma_f32 v2, -0.5, v1, v2
	v_sub_f32_e32 v1, v38, v36
	v_fmamk_f32 v54, v62, 0x3f737871, v2
	s_delay_alu instid0(VALU_DEP_2) | instskip(SKIP_2) | instid1(VALU_DEP_4)
	v_dual_add_f32 v58, v1, v4 :: v_dual_add_f32 v1, v39, v35
	v_add_f32_e32 v4, v37, v45
	v_fmac_f32_e32 v2, 0xbf737871, v62
	v_fmac_f32_e32 v54, 0xbf167918, v63
	s_delay_alu instid0(VALU_DEP_4) | instskip(NEXT) | instid1(VALU_DEP_4)
	v_fma_f32 v1, -0.5, v1, v3
	v_dual_fmac_f32 v3, -0.5, v4 :: v_dual_sub_f32 v4, v39, v37
	s_delay_alu instid0(VALU_DEP_4) | instskip(NEXT) | instid1(VALU_DEP_4)
	v_fmac_f32_e32 v2, 0x3f167918, v63
	v_fmac_f32_e32 v54, 0x3e9e377a, v58
	s_delay_alu instid0(VALU_DEP_3) | instskip(NEXT) | instid1(VALU_DEP_4)
	v_fmamk_f32 v55, v64, 0xbf737871, v3
	v_dual_add_f32 v59, v4, v5 :: v_dual_sub_f32 v4, v30, v27
	v_sub_f32_e32 v5, v41, v43
	v_fmac_f32_e32 v3, 0x3f737871, v64
	v_fmac_f32_e32 v2, 0x3e9e377a, v58
	;; [unrolled: 1-line block ×3, first 2 shown]
	s_delay_alu instid0(VALU_DEP_4) | instskip(SKIP_2) | instid1(VALU_DEP_4)
	v_add_f32_e32 v60, v4, v5
	v_dual_add_f32 v4, v27, v43 :: v_dual_add_f32 v5, v29, v44
	v_fmac_f32_e32 v3, 0xbf167918, v65
	v_fmac_f32_e32 v55, 0x3e9e377a, v59
	s_waitcnt lgkmcnt(6)
	s_delay_alu instid0(VALU_DEP_3) | instskip(SKIP_2) | instid1(VALU_DEP_3)
	v_fma_f32 v4, -0.5, v4, v46
	v_fma_f32 v5, -0.5, v5, v47
	v_fmac_f32_e32 v3, 0x3e9e377a, v59
	v_fmamk_f32 v56, v66, 0x3f737871, v4
	s_delay_alu instid0(VALU_DEP_3) | instskip(SKIP_1) | instid1(VALU_DEP_3)
	v_dual_fmac_f32 v4, 0xbf737871, v66 :: v_dual_fmamk_f32 v57, v68, 0xbf737871, v5
	v_fmac_f32_e32 v5, 0x3f737871, v68
	v_fmac_f32_e32 v56, 0xbf167918, v67
	s_delay_alu instid0(VALU_DEP_3) | instskip(NEXT) | instid1(VALU_DEP_3)
	v_dual_fmac_f32 v4, 0x3f167918, v67 :: v_dual_fmac_f32 v57, 0x3f167918, v69
	v_fmac_f32_e32 v5, 0xbf167918, v69
	s_delay_alu instid0(VALU_DEP_3) | instskip(NEXT) | instid1(VALU_DEP_3)
	v_fmac_f32_e32 v56, 0x3e9e377a, v60
	v_dual_fmac_f32 v4, 0x3e9e377a, v60 :: v_dual_fmac_f32 v57, 0x3e9e377a, v61
	s_delay_alu instid0(VALU_DEP_3) | instskip(SKIP_4) | instid1(VALU_DEP_2)
	v_fmac_f32_e32 v5, 0x3e9e377a, v61
	ds_store_2addr_b64 v72, v[2:3], v[4:5] offset0:71 offset1:196
	v_sub_f32_e32 v2, v36, v38
	v_dual_sub_f32 v3, v40, v34 :: v_dual_sub_f32 v4, v37, v39
	v_dual_sub_f32 v5, v45, v35 :: v_dual_add_nc_u32 v40, 0x1800, v209
	v_add_f32_e32 v36, v2, v3
	v_sub_f32_e32 v2, v27, v30
	v_sub_f32_e32 v3, v43, v41
	s_delay_alu instid0(VALU_DEP_4) | instskip(SKIP_1) | instid1(VALU_DEP_3)
	v_add_f32_e32 v37, v4, v5
	v_dual_sub_f32 v4, v29, v33 :: v_dual_sub_f32 v5, v44, v42
	v_add_f32_e32 v38, v2, v3
	v_dual_add_f32 v2, v30, v41 :: v_dual_add_f32 v3, v33, v42
	s_delay_alu instid0(VALU_DEP_3) | instskip(SKIP_1) | instid1(VALU_DEP_3)
	v_dual_add_f32 v39, v4, v5 :: v_dual_fmamk_f32 v4, v63, 0xbf737871, v0
	v_fmamk_f32 v5, v65, 0x3f737871, v1
	v_fma_f32 v2, -0.5, v2, v46
	s_delay_alu instid0(VALU_DEP_4)
	v_fma_f32 v3, -0.5, v3, v47
	v_fmac_f32_e32 v0, 0x3f737871, v63
	v_fmac_f32_e32 v4, 0xbf167918, v62
	;; [unrolled: 1-line block ×3, first 2 shown]
	v_fmamk_f32 v34, v67, 0xbf737871, v2
	v_fmamk_f32 v35, v69, 0x3f737871, v3
	v_fmac_f32_e32 v1, 0xbf737871, v65
	s_delay_alu instid0(VALU_DEP_4) | instskip(NEXT) | instid1(VALU_DEP_4)
	v_dual_fmac_f32 v4, 0x3e9e377a, v36 :: v_dual_fmac_f32 v5, 0x3e9e377a, v37
	v_fmac_f32_e32 v34, 0xbf167918, v66
	s_delay_alu instid0(VALU_DEP_4) | instskip(SKIP_3) | instid1(VALU_DEP_4)
	v_fmac_f32_e32 v35, 0x3f167918, v68
	v_fmac_f32_e32 v2, 0x3f737871, v67
	;; [unrolled: 1-line block ×4, first 2 shown]
	v_dual_fmac_f32 v34, 0x3e9e377a, v38 :: v_dual_fmac_f32 v35, 0x3e9e377a, v39
	v_fmac_f32_e32 v1, 0xbf167918, v64
	v_fmac_f32_e32 v2, 0x3f167918, v66
	;; [unrolled: 1-line block ×4, first 2 shown]
	ds_store_2addr_b64 v40, v[4:5], v[34:35] offset0:107 offset1:232
	v_add_nc_u32_e32 v4, 0x3000, v209
	v_dual_fmac_f32 v1, 0x3e9e377a, v37 :: v_dual_fmac_f32 v2, 0x3e9e377a, v38
	v_fmac_f32_e32 v3, 0x3e9e377a, v39
	v_sub_f32_e32 v5, v23, v31
	ds_store_2addr_b64 v4, v[54:55], v[56:57] offset0:89 offset1:214
	v_add_nc_u32_e32 v4, 0x6000, v209
	s_waitcnt lgkmcnt(8)
	v_add_f32_e32 v34, v52, v6
	v_add_f32_e32 v36, v53, v10
	v_sub_f32_e32 v38, v11, v17
	v_sub_f32_e32 v40, v12, v14
	ds_store_2addr_b64 v4, v[0:1], v[2:3] offset0:53 offset1:178
	v_dual_add_f32 v0, v46, v27 :: v_dual_add_f32 v1, v47, v29
	v_dual_add_f32 v2, v48, v22 :: v_dual_add_f32 v3, v49, v23
	v_sub_f32_e32 v4, v28, v31
	s_delay_alu instid0(VALU_DEP_3) | instskip(NEXT) | instid1(VALU_DEP_3)
	v_dual_add_f32 v0, v0, v30 :: v_dual_add_f32 v1, v1, v33
	v_dual_add_f32 v2, v2, v25 :: v_dual_add_f32 v3, v3, v24
	v_sub_f32_e32 v29, v24, v28
	s_delay_alu instid0(VALU_DEP_3) | instskip(NEXT) | instid1(VALU_DEP_3)
	;; [unrolled: 4-line block ×3, first 2 shown]
	v_dual_add_f32 v0, v0, v43 :: v_dual_add_f32 v1, v1, v44
	v_dual_add_f32 v2, v2, v32 :: v_dual_add_f32 v3, v3, v31
	v_sub_f32_e32 v39, v10, v21
	v_sub_f32_e32 v41, v6, v20
	ds_store_2addr_b64 v210, v[0:1], v[2:3] offset0:122 offset1:247
	v_dual_add_f32 v0, v25, v26 :: v_dual_add_f32 v1, v22, v32
	v_sub_f32_e32 v2, v26, v32
	v_sub_f32_e32 v26, v32, v26
	s_delay_alu instid0(VALU_DEP_3) | instskip(NEXT) | instid1(VALU_DEP_4)
	v_fma_f32 v0, -0.5, v0, v48
	v_fma_f32 v48, -0.5, v1, v48
	v_sub_f32_e32 v1, v25, v22
	v_sub_f32_e32 v25, v22, v25
	s_delay_alu instid0(VALU_DEP_2) | instskip(SKIP_1) | instid1(VALU_DEP_1)
	v_dual_sub_f32 v22, v22, v32 :: v_dual_add_f32 v3, v1, v2
	v_dual_add_f32 v1, v24, v28 :: v_dual_add_f32 v2, v23, v31
	v_fma_f32 v1, -0.5, v1, v49
	s_delay_alu instid0(VALU_DEP_2)
	v_dual_fmac_f32 v49, -0.5, v2 :: v_dual_sub_f32 v2, v24, v23
	v_sub_f32_e32 v23, v23, v24
	v_sub_f32_e32 v24, v31, v28
	;; [unrolled: 1-line block ×4, first 2 shown]
	v_dual_add_f32 v27, v2, v4 :: v_dual_fmamk_f32 v2, v29, 0x3f737871, v48
	v_fmac_f32_e32 v48, 0xbf737871, v29
	v_fmamk_f32 v4, v5, 0xbf737871, v0
	v_dual_fmac_f32 v0, 0x3f737871, v5 :: v_dual_add_f32 v23, v23, v24
	s_delay_alu instid0(VALU_DEP_4) | instskip(NEXT) | instid1(VALU_DEP_4)
	v_fmac_f32_e32 v2, 0xbf167918, v5
	v_fmac_f32_e32 v48, 0x3f167918, v5
	v_fmamk_f32 v5, v22, 0x3f737871, v1
	v_fmac_f32_e32 v1, 0xbf737871, v22
	v_fmac_f32_e32 v0, 0x3f167918, v29
	;; [unrolled: 1-line block ×4, first 2 shown]
	v_fmamk_f32 v3, v30, 0xbf737871, v49
	v_fmac_f32_e32 v49, 0x3f737871, v30
	v_fmac_f32_e32 v1, 0xbf167918, v30
	;; [unrolled: 1-line block ×3, first 2 shown]
	v_sub_f32_e32 v30, v7, v18
	v_fmac_f32_e32 v3, 0x3f167918, v22
	v_fmac_f32_e32 v49, 0xbf167918, v22
	v_dual_add_f32 v22, v25, v26 :: v_dual_fmac_f32 v1, 0x3e9e377a, v23
	v_fmac_f32_e32 v4, 0xbf167918, v29
	s_delay_alu instid0(VALU_DEP_4) | instskip(NEXT) | instid1(VALU_DEP_3)
	v_fmac_f32_e32 v3, 0x3e9e377a, v27
	v_dual_fmac_f32 v49, 0x3e9e377a, v27 :: v_dual_fmac_f32 v0, 0x3e9e377a, v22
	ds_store_b64 v209, v[48:49] offset:21000
	ds_store_b64 v209, v[2:3] offset:15000
	ds_store_b64 v209, v[0:1] offset:27000
	v_dual_sub_f32 v0, v7, v9 :: v_dual_sub_f32 v1, v18, v15
	v_dual_sub_f32 v2, v8, v13 :: v_dual_sub_f32 v3, v19, v16
	v_dual_sub_f32 v29, v13, v16 :: v_dual_fmac_f32 v4, 0x3e9e377a, v22
	s_delay_alu instid0(VALU_DEP_3)
	v_add_f32_e32 v26, v0, v1
	v_add_f32_e32 v0, v9, v15
	;; [unrolled: 1-line block ×4, first 2 shown]
	v_fmac_f32_e32 v5, 0x3e9e377a, v23
	v_add_nc_u32_e32 v22, 0x2000, v209
	v_fma_f32 v0, -0.5, v0, v50
	v_fma_f32 v1, -0.5, v1, v51
	s_delay_alu instid0(VALU_DEP_2) | instskip(NEXT) | instid1(VALU_DEP_2)
	v_dual_sub_f32 v23, v14, v20 :: v_dual_fmamk_f32 v2, v28, 0xbf737871, v0
	v_dual_fmamk_f32 v3, v30, 0x3f737871, v1 :: v_dual_fmac_f32 v0, 0x3f737871, v28
	v_fmac_f32_e32 v1, 0xbf737871, v30
	s_delay_alu instid0(VALU_DEP_3) | instskip(NEXT) | instid1(VALU_DEP_3)
	v_fmac_f32_e32 v2, 0xbf167918, v29
	v_dual_fmac_f32 v3, 0x3f167918, v31 :: v_dual_fmac_f32 v0, 0x3f167918, v29
	s_delay_alu instid0(VALU_DEP_3) | instskip(NEXT) | instid1(VALU_DEP_2)
	v_fmac_f32_e32 v1, 0xbf167918, v31
	v_dual_fmac_f32 v2, 0x3e9e377a, v26 :: v_dual_fmac_f32 v3, 0x3e9e377a, v27
	s_delay_alu instid0(VALU_DEP_2) | instskip(SKIP_4) | instid1(VALU_DEP_3)
	v_dual_fmac_f32 v0, 0x3e9e377a, v26 :: v_dual_fmac_f32 v1, 0x3e9e377a, v27
	ds_store_2addr_b64 v22, v[4:5], v[2:3] offset0:101 offset1:226
	v_dual_sub_f32 v4, v13, v8 :: v_dual_sub_f32 v5, v16, v19
	v_dual_sub_f32 v2, v9, v7 :: v_dual_sub_f32 v3, v15, v18
	v_sub_f32_e32 v22, v12, v6
	v_add_f32_e32 v33, v4, v5
	v_dual_add_f32 v4, v12, v14 :: v_dual_add_f32 v5, v6, v20
	s_delay_alu instid0(VALU_DEP_4) | instskip(SKIP_1) | instid1(VALU_DEP_3)
	v_add_f32_e32 v32, v2, v3
	v_dual_add_f32 v2, v7, v18 :: v_dual_add_f32 v3, v8, v19
	v_fma_f32 v4, -0.5, v4, v52
	s_delay_alu instid0(VALU_DEP_4)
	v_fma_f32 v52, -0.5, v5, v52
	v_add_f32_e32 v5, v11, v17
	v_add_f32_e32 v35, v22, v23
	;; [unrolled: 1-line block ×3, first 2 shown]
	v_fma_f32 v2, -0.5, v2, v50
	v_fma_f32 v3, -0.5, v3, v51
	;; [unrolled: 1-line block ×3, first 2 shown]
	v_sub_f32_e32 v23, v17, v21
	v_fmac_f32_e32 v53, -0.5, v22
	v_sub_f32_e32 v22, v11, v10
	v_fmamk_f32 v24, v38, 0x3f737871, v52
	v_fmac_f32_e32 v52, 0xbf737871, v38
	s_delay_alu instid0(VALU_DEP_4) | instskip(NEXT) | instid1(VALU_DEP_4)
	v_dual_sub_f32 v6, v6, v12 :: v_dual_fmamk_f32 v25, v40, 0xbf737871, v53
	v_dual_add_f32 v37, v22, v23 :: v_dual_fmamk_f32 v22, v29, 0x3f737871, v2
	v_dual_fmac_f32 v2, 0xbf737871, v29 :: v_dual_fmamk_f32 v23, v31, 0xbf737871, v3
	v_fmac_f32_e32 v3, 0x3f737871, v31
	v_fmac_f32_e32 v53, 0x3f737871, v40
	;; [unrolled: 1-line block ×3, first 2 shown]
	s_delay_alu instid0(VALU_DEP_4) | instskip(NEXT) | instid1(VALU_DEP_4)
	v_fmac_f32_e32 v2, 0x3f167918, v28
	v_dual_fmac_f32 v22, 0xbf167918, v28 :: v_dual_fmac_f32 v3, 0xbf167918, v30
	s_delay_alu instid0(VALU_DEP_4) | instskip(NEXT) | instid1(VALU_DEP_4)
	v_fmac_f32_e32 v53, 0xbf167918, v41
	v_fmac_f32_e32 v52, 0x3e9e377a, v35
	s_delay_alu instid0(VALU_DEP_4)
	v_fmac_f32_e32 v2, 0x3e9e377a, v32
	v_fmac_f32_e32 v23, 0x3f167918, v30
	;; [unrolled: 1-line block ×6, first 2 shown]
	v_dual_fmac_f32 v22, 0x3e9e377a, v32 :: v_dual_fmac_f32 v23, 0x3e9e377a, v33
	ds_store_2addr_b64 v255, v[2:3], v[52:53] offset0:62 offset1:187
	v_dual_add_f32 v2, v50, v7 :: v_dual_add_f32 v3, v51, v8
	v_dual_add_f32 v7, v34, v12 :: v_dual_add_f32 v8, v36, v11
	v_fmac_f32_e32 v24, 0x3e9e377a, v35
	s_delay_alu instid0(VALU_DEP_3) | instskip(NEXT) | instid1(VALU_DEP_4)
	v_add_f32_e32 v2, v2, v9
	v_add_f32_e32 v3, v3, v13
	s_delay_alu instid0(VALU_DEP_4) | instskip(NEXT) | instid1(VALU_DEP_3)
	v_dual_add_f32 v7, v7, v14 :: v_dual_add_f32 v8, v8, v17
	v_dual_sub_f32 v9, v21, v17 :: v_dual_add_f32 v2, v2, v15
	s_delay_alu instid0(VALU_DEP_3) | instskip(NEXT) | instid1(VALU_DEP_3)
	v_add_f32_e32 v3, v3, v16
	v_dual_add_f32 v7, v7, v20 :: v_dual_add_f32 v8, v8, v21
	s_delay_alu instid0(VALU_DEP_3) | instskip(NEXT) | instid1(VALU_DEP_3)
	v_dual_fmac_f32 v25, 0x3e9e377a, v37 :: v_dual_add_f32 v2, v2, v18
	v_add_f32_e32 v3, v3, v19
	ds_store_2addr_b64 v202, v[22:23], v[24:25] offset0:80 offset1:205
	ds_store_2addr_b64 v206, v[2:3], v[7:8] offset0:116 offset1:241
	v_dual_sub_f32 v7, v20, v14 :: v_dual_fmamk_f32 v2, v39, 0xbf737871, v4
	v_fmac_f32_e32 v4, 0x3f737871, v39
	v_dual_sub_f32 v8, v10, v11 :: v_dual_fmamk_f32 v3, v41, 0x3f737871, v5
	s_delay_alu instid0(VALU_DEP_3) | instskip(NEXT) | instid1(VALU_DEP_2)
	v_dual_fmac_f32 v5, 0xbf737871, v41 :: v_dual_add_f32 v6, v6, v7
	v_dual_fmac_f32 v4, 0x3f167918, v38 :: v_dual_add_f32 v7, v8, v9
	s_delay_alu instid0(VALU_DEP_2) | instskip(NEXT) | instid1(VALU_DEP_4)
	v_dual_fmac_f32 v2, 0xbf167918, v38 :: v_dual_fmac_f32 v5, 0xbf167918, v40
	v_fmac_f32_e32 v3, 0x3f167918, v40
	s_delay_alu instid0(VALU_DEP_3) | instskip(NEXT) | instid1(VALU_DEP_3)
	v_fmac_f32_e32 v4, 0x3e9e377a, v6
	v_dual_fmac_f32 v2, 0x3e9e377a, v6 :: v_dual_fmac_f32 v5, 0x3e9e377a, v7
	s_delay_alu instid0(VALU_DEP_3)
	v_fmac_f32_e32 v3, 0x3e9e377a, v7
	ds_store_2addr_b64 v240, v[0:1], v[4:5] offset0:44 offset1:169
	ds_store_b64 v209, v[2:3] offset:11000
	s_waitcnt lgkmcnt(0)
	s_barrier
	buffer_gl0_inv
	scratch_load_b64 v[5:6], off, off offset:232 ; 8-byte Folded Reload
	ds_load_2addr_b64 v[1:4], v209 offset1:125
	s_clause 0x1
	scratch_load_b64 v[10:11], off, off offset:216
	scratch_load_b64 v[18:19], off, off offset:200
	ds_load_2addr_b64 v[14:17], v229 offset0:68 offset1:193
	s_clause 0x8
	scratch_load_b64 v[22:23], off, off offset:152
	scratch_load_b64 v[24:25], off, off offset:168
	;; [unrolled: 1-line block ×8, first 2 shown]
	scratch_load_b32 v46, off, off offset:240
	s_waitcnt vmcnt(11) lgkmcnt(1)
	v_mul_f32_e32 v0, v6, v2
	s_delay_alu instid0(VALU_DEP_1) | instskip(SKIP_1) | instid1(VALU_DEP_1)
	v_fmac_f32_e32 v0, v5, v1
	v_mul_f32_e32 v1, v6, v1
	v_fma_f32 v1, v5, v2, -v1
	scratch_load_b64 v[5:6], off, off offset:224 ; 8-byte Folded Reload
	s_waitcnt vmcnt(0)
	v_mul_f32_e32 v2, v6, v4
	s_delay_alu instid0(VALU_DEP_1)
	v_fmac_f32_e32 v2, v5, v3
	v_mul_f32_e32 v3, v6, v3
	ds_load_2addr_b64 v[6:9], v203 offset0:98 offset1:223
	v_fma_f32 v3, v5, v4, -v3
	s_waitcnt lgkmcnt(0)
	v_mul_f32_e32 v4, v11, v7
	v_mul_f32_e32 v5, v11, v6
	s_delay_alu instid0(VALU_DEP_2) | instskip(NEXT) | instid1(VALU_DEP_2)
	v_fmac_f32_e32 v4, v10, v6
	v_fma_f32 v5, v10, v7, -v5
	scratch_load_b64 v[10:11], off, off offset:192 ; 8-byte Folded Reload
	s_waitcnt vmcnt(0)
	v_mul_f32_e32 v7, v11, v9
	v_mul_f32_e32 v6, v11, v8
	s_delay_alu instid0(VALU_DEP_2) | instskip(NEXT) | instid1(VALU_DEP_2)
	v_fmac_f32_e32 v7, v10, v8
	v_fma_f32 v11, v10, v9, -v6
	scratch_load_b64 v[8:9], off, off offset:184 ; 8-byte Folded Reload
	v_cvt_f64_f32_e32 v[48:49], v11
	s_waitcnt vmcnt(0)
	v_mul_f32_e32 v13, v9, v15
	v_dual_mul_f32 v6, v9, v14 :: v_dual_mul_f32 v9, v19, v17
	s_delay_alu instid0(VALU_DEP_2) | instskip(NEXT) | instid1(VALU_DEP_2)
	v_fmac_f32_e32 v13, v8, v14
	v_fma_f32 v14, v8, v15, -v6
	v_mul_f32_e32 v6, v19, v16
	scratch_load_b64 v[19:20], off, off offset:208 ; 8-byte Folded Reload
	v_fmac_f32_e32 v9, v18, v16
	v_fma_f32 v8, v18, v17, -v6
	ds_load_2addr_b64 v[15:18], v210 offset0:122 offset1:247
	s_waitcnt vmcnt(0) lgkmcnt(0)
	v_mul_f32_e32 v6, v20, v16
	v_mul_f32_e32 v10, v20, v15
	s_delay_alu instid0(VALU_DEP_2) | instskip(NEXT) | instid1(VALU_DEP_2)
	v_fmac_f32_e32 v6, v19, v15
	v_fma_f32 v10, v19, v16, -v10
	scratch_load_b64 v[19:20], off, off offset:176 ; 8-byte Folded Reload
	s_waitcnt vmcnt(0)
	v_mul_f32_e32 v12, v20, v18
	v_mul_f32_e32 v15, v20, v17
	s_delay_alu instid0(VALU_DEP_2) | instskip(NEXT) | instid1(VALU_DEP_2)
	v_fmac_f32_e32 v12, v19, v17
	v_fma_f32 v16, v19, v18, -v15
	ds_load_2addr_b64 v[17:20], v222 offset0:92 offset1:217
	s_waitcnt lgkmcnt(0)
	v_mul_f32_e32 v21, v23, v18
	v_mul_f32_e32 v15, v23, v17
	s_delay_alu instid0(VALU_DEP_2) | instskip(NEXT) | instid1(VALU_DEP_2)
	v_fmac_f32_e32 v21, v22, v17
	v_fma_f32 v23, v22, v18, -v15
	v_mul_f32_e32 v15, v25, v20
	v_mul_f32_e32 v17, v25, v19
	ds_load_2addr_b64 v[25:28], v255 offset0:62 offset1:187
	v_fmac_f32_e32 v15, v24, v19
	v_fma_f32 v19, v24, v20, -v17
	s_waitcnt lgkmcnt(0)
	v_mul_f32_e32 v24, v30, v26
	v_mul_f32_e32 v17, v30, v25
	s_delay_alu instid0(VALU_DEP_2) | instskip(NEXT) | instid1(VALU_DEP_2)
	v_fmac_f32_e32 v24, v29, v25
	v_fma_f32 v25, v29, v26, -v17
	scratch_load_b64 v[29:30], off, off offset:160 ; 8-byte Folded Reload
	s_waitcnt vmcnt(0)
	v_mul_f32_e32 v18, v30, v28
	v_mul_f32_e32 v17, v30, v27
	s_delay_alu instid0(VALU_DEP_2) | instskip(NEXT) | instid1(VALU_DEP_2)
	v_fmac_f32_e32 v18, v29, v27
	v_fma_f32 v22, v29, v28, -v17
	ds_load_2addr_b64 v[27:30], v206 offset0:116 offset1:241
	s_waitcnt lgkmcnt(0)
	v_mul_f32_e32 v17, v32, v28
	v_mul_f32_e32 v20, v32, v27
	s_delay_alu instid0(VALU_DEP_2) | instskip(NEXT) | instid1(VALU_DEP_2)
	v_fmac_f32_e32 v17, v31, v27
	v_fma_f32 v20, v31, v28, -v20
	scratch_load_b64 v[31:32], off, off offset:120 ; 8-byte Folded Reload
	s_waitcnt vmcnt(0)
	v_mul_f32_e32 v28, v32, v30
	v_mul_f32_e32 v26, v32, v29
	s_delay_alu instid0(VALU_DEP_2) | instskip(NEXT) | instid1(VALU_DEP_2)
	v_fmac_f32_e32 v28, v31, v29
	v_fma_f32 v26, v31, v30, -v26
	ds_load_2addr_b64 v[29:32], v239 offset0:86 offset1:211
	s_waitcnt lgkmcnt(0)
	v_mul_f32_e32 v36, v34, v30
	v_mul_f32_e32 v27, v34, v29
	s_delay_alu instid0(VALU_DEP_2) | instskip(NEXT) | instid1(VALU_DEP_2)
	v_fmac_f32_e32 v36, v33, v29
	v_fma_f32 v37, v33, v30, -v27
	scratch_load_b64 v[33:34], off, off offset:112 ; 8-byte Folded Reload
	s_waitcnt vmcnt(0)
	v_mul_f32_e32 v27, v34, v32
	v_mul_f32_e32 v29, v34, v31
	s_delay_alu instid0(VALU_DEP_2) | instskip(NEXT) | instid1(VALU_DEP_2)
	v_fmac_f32_e32 v27, v33, v31
	v_fma_f32 v29, v33, v32, -v29
	ds_load_2addr_b64 v[30:33], v230 offset0:56 offset1:181
	s_waitcnt lgkmcnt(0)
	v_mul_f32_e32 v34, v39, v31
	s_delay_alu instid0(VALU_DEP_1) | instskip(SKIP_1) | instid1(VALU_DEP_1)
	v_fmac_f32_e32 v34, v38, v30
	v_mul_f32_e32 v30, v39, v30
	v_fma_f32 v35, v38, v31, -v30
	scratch_load_b64 v[38:39], off, off offset:136 ; 8-byte Folded Reload
	s_waitcnt vmcnt(0)
	v_mul_f32_e32 v30, v39, v33
	v_mul_f32_e32 v31, v39, v32
	s_delay_alu instid0(VALU_DEP_2) | instskip(NEXT) | instid1(VALU_DEP_2)
	v_fmac_f32_e32 v30, v38, v32
	v_fma_f32 v33, v38, v33, -v31
	ds_load_2addr_b64 v[38:41], v105 offset0:110 offset1:235
	s_waitcnt lgkmcnt(0)
	v_mul_f32_e32 v31, v43, v39
	v_mul_f32_e32 v32, v43, v38
	s_delay_alu instid0(VALU_DEP_2) | instskip(NEXT) | instid1(VALU_DEP_2)
	v_fmac_f32_e32 v31, v42, v38
	v_fma_f32 v32, v42, v39, -v32
	scratch_load_b64 v[42:43], off, off offset:88 ; 8-byte Folded Reload
	s_waitcnt vmcnt(0)
	v_mul_f32_e32 v38, v43, v41
	v_mul_f32_e32 v39, v43, v40
	s_delay_alu instid0(VALU_DEP_2) | instskip(NEXT) | instid1(VALU_DEP_2)
	v_fmac_f32_e32 v38, v42, v40
	v_fma_f32 v39, v42, v41, -v39
	ds_load_2addr_b64 v[40:43], v202 offset0:80 offset1:205
	s_waitcnt lgkmcnt(0)
	v_mul_f32_e32 v50, v45, v41
	s_delay_alu instid0(VALU_DEP_1) | instskip(SKIP_1) | instid1(VALU_DEP_1)
	v_fmac_f32_e32 v50, v44, v40
	v_mul_f32_e32 v40, v45, v40
	v_fma_f32 v51, v44, v41, -v40
	scratch_load_b64 v[40:41], off, off offset:80 ; 8-byte Folded Reload
	s_waitcnt vmcnt(0)
	v_mul_f32_e32 v52, v41, v43
	v_dual_mov_b32 v45, v41 :: v_dual_mov_b32 v44, v40
	s_delay_alu instid0(VALU_DEP_2) | instskip(NEXT) | instid1(VALU_DEP_2)
	v_fmac_f32_e32 v52, v40, v42
	v_mul_f32_e32 v40, v45, v42
	s_delay_alu instid0(VALU_DEP_1) | instskip(SKIP_4) | instid1(VALU_DEP_1)
	v_fma_f32 v53, v44, v43, -v40
	scratch_load_b64 v[44:45], off, off offset:40 ; 8-byte Folded Reload
	ds_load_2addr_b64 v[40:43], v104 offset0:50 offset1:175
	s_waitcnt vmcnt(0) lgkmcnt(0)
	v_mul_f32_e32 v54, v45, v41
	v_fmac_f32_e32 v54, v44, v40
	v_mul_f32_e32 v40, v45, v40
	s_delay_alu instid0(VALU_DEP_1) | instskip(SKIP_4) | instid1(VALU_DEP_2)
	v_fma_f32 v55, v44, v41, -v40
	scratch_load_b64 v[44:45], off, off offset:64 ; 8-byte Folded Reload
	s_waitcnt vmcnt(0)
	v_mul_f32_e32 v56, v45, v43
	v_mul_f32_e32 v40, v45, v42
	v_fmac_f32_e32 v56, v44, v42
	s_delay_alu instid0(VALU_DEP_2) | instskip(SKIP_4) | instid1(VALU_DEP_1)
	v_fma_f32 v57, v44, v43, -v40
	scratch_load_b64 v[44:45], off, off offset:72 ; 8-byte Folded Reload
	ds_load_2addr_b64 v[40:43], v125 offset0:104 offset1:229
	s_waitcnt vmcnt(0) lgkmcnt(0)
	v_mul_f32_e32 v58, v45, v41
	v_fmac_f32_e32 v58, v44, v40
	v_mul_f32_e32 v40, v45, v40
	s_delay_alu instid0(VALU_DEP_1) | instskip(SKIP_4) | instid1(VALU_DEP_2)
	v_fma_f32 v59, v44, v41, -v40
	scratch_load_b64 v[44:45], off, off offset:48 ; 8-byte Folded Reload
	s_waitcnt vmcnt(0)
	v_mul_f32_e32 v60, v45, v43
	v_mul_f32_e32 v40, v45, v42
	v_fmac_f32_e32 v60, v44, v42
	s_delay_alu instid0(VALU_DEP_2) | instskip(SKIP_4) | instid1(VALU_DEP_1)
	;; [unrolled: 15-line block ×3, first 2 shown]
	v_fma_f32 v65, v44, v43, -v40
	scratch_load_b64 v[44:45], off, off offset:16 ; 8-byte Folded Reload
	ds_load_2addr_b64 v[40:43], v240 offset0:44 offset1:169
	s_waitcnt vmcnt(0) lgkmcnt(0)
	v_mul_f32_e32 v66, v45, v41
	v_fmac_f32_e32 v66, v44, v40
	v_mul_f32_e32 v40, v45, v40
	s_delay_alu instid0(VALU_DEP_1) | instskip(SKIP_4) | instid1(VALU_DEP_2)
	v_fma_f32 v67, v44, v41, -v40
	scratch_load_b64 v[44:45], off, off offset:24 ; 8-byte Folded Reload
	s_waitcnt vmcnt(0)
	v_mul_f32_e32 v68, v45, v43
	v_mul_f32_e32 v40, v45, v42
	v_fmac_f32_e32 v68, v44, v42
	s_delay_alu instid0(VALU_DEP_2) | instskip(SKIP_4) | instid1(SALU_CYCLE_1)
	v_fma_f32 v69, v44, v43, -v40
	scratch_load_b64 v[44:45], off, off     ; 8-byte Folded Reload
	s_waitcnt vmcnt(0)
	v_mad_u64_u32 v[40:41], null, s6, v44, 0
	s_mul_hi_u32 s6, s4, 0xffffb5c8
	s_sub_i32 s6, s6, s4
	s_delay_alu instid0(VALU_DEP_1) | instskip(SKIP_2) | instid1(VALU_DEP_1)
	v_mad_u64_u32 v[42:43], null, s7, v44, v[41:42]
	v_mad_u64_u32 v[43:44], null, s4, v46, 0
	s_mulk_i32 s4, 0xb5c8
	v_dual_mov_b32 v41, v42 :: v_dual_mov_b32 v42, v44
	s_delay_alu instid0(VALU_DEP_1) | instskip(NEXT) | instid1(VALU_DEP_2)
	v_lshlrev_b64 v[40:41], 3, v[40:41]
	v_mad_u64_u32 v[44:45], null, s5, v46, v[42:43]
	v_cvt_f64_f32_e32 v[45:46], v0
	v_cvt_f64_f32_e32 v[0:1], v1
	s_delay_alu instid0(VALU_DEP_4)
	v_add_co_u32 v40, vcc_lo, s0, v40
	v_add_co_ci_u32_e32 v41, vcc_lo, s1, v41, vcc_lo
	v_lshlrev_b64 v[42:43], 3, v[43:44]
	s_mov_b32 s0, 0x9cbd821e
	s_mov_b32 s1, 0x3f3179ec
	s_mulk_i32 s5, 0xb5c8
	v_mul_f64 v[48:49], v[48:49], s[0:1]
	s_add_i32 s5, s6, s5
	v_add_co_u32 v40, vcc_lo, v40, v42
	v_add_co_ci_u32_e32 v41, vcc_lo, v41, v43, vcc_lo
	v_cvt_f64_f32_e32 v[42:43], v4
	v_cvt_f64_f32_e32 v[4:5], v5
	v_mul_f64 v[44:45], v[45:46], s[0:1]
	v_mul_f64 v[0:1], v[0:1], s[0:1]
	v_cvt_f64_f32_e32 v[46:47], v13
	v_cvt_f64_f32_e32 v[13:14], v14
	v_mul_f64 v[42:43], v[42:43], s[0:1]
	v_mul_f64 v[4:5], v[4:5], s[0:1]
	v_cvt_f32_f64_e32 v44, v[44:45]
	v_cvt_f32_f64_e32 v45, v[0:1]
	v_cvt_f64_f32_e32 v[0:1], v2
	v_cvt_f64_f32_e32 v[2:3], v3
	v_mul_f64 v[46:47], v[46:47], s[0:1]
	v_mul_f64 v[13:14], v[13:14], s[0:1]
	v_cvt_f32_f64_e32 v42, v[42:43]
	v_cvt_f32_f64_e32 v43, v[4:5]
	v_cvt_f64_f32_e32 v[4:5], v7
	v_cvt_f64_f32_e32 v[7:8], v8
	global_store_b64 v[40:41], v[44:45], off
	v_mul_f64 v[0:1], v[0:1], s[0:1]
	v_mul_f64 v[2:3], v[2:3], s[0:1]
	v_cvt_f32_f64_e32 v46, v[46:47]
	v_cvt_f32_f64_e32 v47, v[13:14]
	v_cvt_f64_f32_e32 v[13:14], v9
	v_cvt_f64_f32_e32 v[9:10], v10
	v_add_co_u32 v40, vcc_lo, v40, s3
	v_add_co_ci_u32_e32 v41, vcc_lo, s2, v41, vcc_lo
	s_delay_alu instid0(VALU_DEP_2) | instskip(NEXT) | instid1(VALU_DEP_2)
	v_add_co_u32 v44, vcc_lo, v40, s3
	v_add_co_ci_u32_e32 v45, vcc_lo, s2, v41, vcc_lo
	global_store_b64 v[40:41], v[42:43], off
	v_mul_f64 v[4:5], v[4:5], s[0:1]
	v_cvt_f64_f32_e32 v[40:41], v23
	v_cvt_f64_f32_e32 v[23:24], v24
	;; [unrolled: 1-line block ×3, first 2 shown]
	v_cvt_f32_f64_e32 v0, v[0:1]
	v_cvt_f32_f64_e32 v1, v[2:3]
	v_cvt_f64_f32_e32 v[2:3], v6
	v_mul_f64 v[6:7], v[7:8], s[0:1]
	v_mul_f64 v[13:14], v[13:14], s[0:1]
	global_store_b64 v[44:45], v[46:47], off
	v_add_co_u32 v44, vcc_lo, v44, s4
	v_add_co_ci_u32_e32 v45, vcc_lo, s5, v45, vcc_lo
	v_mul_f64 v[8:9], v[9:10], s[0:1]
	v_cvt_f64_f32_e32 v[10:11], v21
	v_cvt_f64_f32_e32 v[46:47], v12
	;; [unrolled: 1-line block ×3, first 2 shown]
	v_cvt_f32_f64_e32 v4, v[4:5]
	v_cvt_f32_f64_e32 v5, v[48:49]
	v_cvt_f64_f32_e32 v[48:49], v16
	v_mul_f64 v[23:24], v[23:24], s[0:1]
	global_store_b64 v[44:45], v[0:1], off
	v_mul_f64 v[2:3], v[2:3], s[0:1]
	v_add_co_u32 v0, vcc_lo, v44, s3
	v_add_co_ci_u32_e32 v1, vcc_lo, s2, v45, vcc_lo
	v_cvt_f64_f32_e32 v[44:45], v19
	v_cvt_f64_f32_e32 v[18:19], v18
	v_cvt_f32_f64_e32 v12, v[13:14]
	v_cvt_f64_f32_e32 v[14:15], v15
	v_cvt_f32_f64_e32 v13, v[6:7]
	v_cvt_f64_f32_e32 v[6:7], v20
	v_mul_f64 v[20:21], v[21:22], s[0:1]
	global_store_b64 v[0:1], v[4:5], off
	v_cvt_f64_f32_e32 v[4:5], v17
	v_cvt_f64_f32_e32 v[16:17], v36
	;; [unrolled: 1-line block ×3, first 2 shown]
	v_add_co_u32 v0, vcc_lo, v0, s3
	v_add_co_ci_u32_e32 v1, vcc_lo, s2, v1, vcc_lo
	v_cvt_f32_f64_e32 v2, v[2:3]
	v_cvt_f32_f64_e32 v3, v[8:9]
	v_mul_f64 v[8:9], v[10:11], s[0:1]
	v_mul_f64 v[10:11], v[40:41], s[0:1]
	;; [unrolled: 1-line block ×5, first 2 shown]
	v_cvt_f64_f32_e32 v[48:49], v34
	v_cvt_f64_f32_e32 v[34:35], v35
	v_mul_f64 v[18:19], v[18:19], s[0:1]
	v_mul_f64 v[14:15], v[14:15], s[0:1]
	;; [unrolled: 1-line block ×4, first 2 shown]
	global_store_b64 v[0:1], v[12:13], off
	v_cvt_f64_f32_e32 v[12:13], v28
	v_cvt_f64_f32_e32 v[28:29], v29
	v_mul_f64 v[4:5], v[4:5], s[0:1]
	v_mul_f64 v[16:17], v[16:17], s[0:1]
	;; [unrolled: 1-line block ×3, first 2 shown]
	v_add_co_u32 v0, vcc_lo, v0, s4
	v_add_co_ci_u32_e32 v1, vcc_lo, s5, v1, vcc_lo
	global_store_b64 v[0:1], v[2:3], off
	v_cvt_f32_f64_e32 v8, v[8:9]
	v_cvt_f32_f64_e32 v9, v[10:11]
	;; [unrolled: 1-line block ×5, first 2 shown]
	v_mul_f64 v[24:25], v[48:49], s[0:1]
	v_mul_f64 v[34:35], v[34:35], s[0:1]
	v_cvt_f64_f32_e32 v[40:41], v26
	v_cvt_f64_f32_e32 v[26:27], v27
	;; [unrolled: 1-line block ×3, first 2 shown]
	v_cvt_f32_f64_e32 v23, v[46:47]
	v_cvt_f64_f32_e32 v[46:47], v33
	v_cvt_f32_f64_e32 v18, v[18:19]
	v_cvt_f32_f64_e32 v19, v[20:21]
	v_cvt_f64_f32_e32 v[20:21], v31
	v_cvt_f64_f32_e32 v[30:31], v32
	v_cvt_f32_f64_e32 v14, v[14:15]
	v_cvt_f32_f64_e32 v15, v[44:45]
	;; [unrolled: 1-line block ×6, first 2 shown]
	v_add_co_u32 v48, vcc_lo, v0, s3
	v_add_co_ci_u32_e32 v49, vcc_lo, s2, v1, vcc_lo
	v_mul_f64 v[2:3], v[12:13], s[0:1]
	s_delay_alu instid0(VALU_DEP_3) | instskip(NEXT) | instid1(VALU_DEP_3)
	v_add_co_u32 v32, vcc_lo, v48, s3
	v_add_co_ci_u32_e32 v33, vcc_lo, s2, v49, vcc_lo
	v_mul_f64 v[28:29], v[28:29], s[0:1]
	s_delay_alu instid0(VALU_DEP_3) | instskip(NEXT) | instid1(VALU_DEP_3)
	v_add_co_u32 v0, vcc_lo, v32, s4
	v_add_co_ci_u32_e32 v1, vcc_lo, s5, v33, vcc_lo
	v_cvt_f64_f32_e32 v[44:45], v61
	s_delay_alu instid0(VALU_DEP_3) | instskip(NEXT) | instid1(VALU_DEP_3)
	v_add_co_u32 v12, vcc_lo, v0, s3
	v_add_co_ci_u32_e32 v13, vcc_lo, s2, v1, vcc_lo
	global_store_b64 v[48:49], v[8:9], off
	v_add_co_u32 v8, vcc_lo, v12, s3
	v_add_co_ci_u32_e32 v9, vcc_lo, s2, v13, vcc_lo
	v_cvt_f32_f64_e32 v16, v[24:25]
	v_cvt_f32_f64_e32 v17, v[34:35]
	v_mul_f64 v[24:25], v[40:41], s[0:1]
	v_mul_f64 v[26:27], v[26:27], s[0:1]
	;; [unrolled: 1-line block ×4, first 2 shown]
	v_add_co_u32 v40, vcc_lo, v8, s4
	v_mul_f64 v[20:21], v[20:21], s[0:1]
	v_mul_f64 v[30:31], v[30:31], s[0:1]
	v_add_co_ci_u32_e32 v41, vcc_lo, s5, v9, vcc_lo
	global_store_b64 v[32:33], v[10:11], off
	v_add_co_u32 v10, vcc_lo, v40, s3
	v_add_co_ci_u32_e32 v11, vcc_lo, s2, v41, vcc_lo
	global_store_b64 v[0:1], v[22:23], off
	global_store_b64 v[12:13], v[14:15], off
	;; [unrolled: 1-line block ×5, first 2 shown]
	v_cvt_f64_f32_e32 v[0:1], v50
	v_cvt_f64_f32_e32 v[4:5], v51
	v_add_co_u32 v6, vcc_lo, v10, s3
	v_add_co_ci_u32_e32 v7, vcc_lo, s2, v11, vcc_lo
	v_cvt_f64_f32_e32 v[8:9], v54
	v_cvt_f64_f32_e32 v[10:11], v55
	;; [unrolled: 1-line block ×10, first 2 shown]
	v_cvt_f32_f64_e32 v2, v[2:3]
	v_cvt_f64_f32_e32 v[46:47], v64
	v_cvt_f64_f32_e32 v[48:49], v65
	;; [unrolled: 1-line block ×4, first 2 shown]
	global_store_b64 v[6:7], v[16:17], off
	v_cvt_f32_f64_e32 v3, v[24:25]
	v_cvt_f32_f64_e32 v24, v[26:27]
	;; [unrolled: 1-line block ×4, first 2 shown]
	v_cvt_f64_f32_e32 v[28:29], v62
	v_cvt_f64_f32_e32 v[34:35], v63
	v_cvt_f32_f64_e32 v27, v[36:37]
	v_cvt_f64_f32_e32 v[16:17], v66
	v_cvt_f64_f32_e32 v[36:37], v67
	v_cvt_f32_f64_e32 v20, v[20:21]
	v_cvt_f32_f64_e32 v21, v[30:31]
	v_cvt_f64_f32_e32 v[30:31], v60
	v_add_co_u32 v6, vcc_lo, v6, s4
	v_add_co_ci_u32_e32 v7, vcc_lo, s5, v7, vcc_lo
	v_mul_f64 v[0:1], v[0:1], s[0:1]
	v_mul_f64 v[4:5], v[4:5], s[0:1]
	s_delay_alu instid0(VALU_DEP_4) | instskip(NEXT) | instid1(VALU_DEP_4)
	v_add_co_u32 v54, vcc_lo, v6, s3
	v_add_co_ci_u32_e32 v55, vcc_lo, s2, v7, vcc_lo
	v_mul_f64 v[8:9], v[8:9], s[0:1]
	v_mul_f64 v[10:11], v[10:11], s[0:1]
	;; [unrolled: 1-line block ×6, first 2 shown]
	v_add_co_u32 v56, vcc_lo, v54, s3
	v_mul_f64 v[32:33], v[32:33], s[0:1]
	v_add_co_ci_u32_e32 v57, vcc_lo, s2, v55, vcc_lo
	v_mul_f64 v[38:39], v[38:39], s[0:1]
	v_mul_f64 v[40:41], v[40:41], s[0:1]
	;; [unrolled: 1-line block ×3, first 2 shown]
	v_add_co_u32 v58, vcc_lo, v56, s4
	v_add_co_ci_u32_e32 v59, vcc_lo, s5, v57, vcc_lo
	global_store_b64 v[6:7], v[2:3], off
	global_store_b64 v[54:55], v[24:25], off
	global_store_b64 v[56:57], v[26:27], off
	global_store_b64 v[58:59], v[20:21], off
	v_mul_f64 v[28:29], v[28:29], s[0:1]
	v_mul_f64 v[34:35], v[34:35], s[0:1]
	;; [unrolled: 1-line block ×10, first 2 shown]
	v_cvt_f32_f64_e32 v0, v[0:1]
	v_cvt_f32_f64_e32 v1, v[4:5]
	v_add_co_u32 v4, vcc_lo, v58, s3
	v_cvt_f32_f64_e32 v8, v[8:9]
	v_cvt_f32_f64_e32 v9, v[10:11]
	v_add_co_ci_u32_e32 v5, vcc_lo, s2, v59, vcc_lo
	v_cvt_f32_f64_e32 v10, v[12:13]
	v_cvt_f32_f64_e32 v11, v[14:15]
	;; [unrolled: 1-line block ×3, first 2 shown]
	v_add_co_u32 v22, vcc_lo, v4, s3
	v_cvt_f32_f64_e32 v12, v[18:19]
	v_add_co_ci_u32_e32 v23, vcc_lo, s2, v5, vcc_lo
	v_cvt_f32_f64_e32 v14, v[32:33]
	s_delay_alu instid0(VALU_DEP_4)
	v_add_co_u32 v32, vcc_lo, v22, s4
	v_cvt_f32_f64_e32 v15, v[38:39]
	v_cvt_f32_f64_e32 v18, v[40:41]
	;; [unrolled: 1-line block ×3, first 2 shown]
	v_add_co_ci_u32_e32 v33, vcc_lo, s5, v23, vcc_lo
	v_cvt_f32_f64_e32 v28, v[28:29]
	v_cvt_f32_f64_e32 v29, v[34:35]
	v_add_co_u32 v34, vcc_lo, v32, s3
	v_cvt_f32_f64_e32 v16, v[16:17]
	v_cvt_f32_f64_e32 v17, v[36:37]
	v_add_co_ci_u32_e32 v35, vcc_lo, s2, v33, vcc_lo
	v_cvt_f32_f64_e32 v2, v[2:3]
	v_cvt_f32_f64_e32 v3, v[6:7]
	v_cvt_f32_f64_e32 v6, v[20:21]
	v_cvt_f32_f64_e32 v7, v[24:25]
	v_cvt_f32_f64_e32 v20, v[26:27]
	v_cvt_f32_f64_e32 v21, v[30:31]
	v_add_co_u32 v24, vcc_lo, v34, s3
	v_add_co_ci_u32_e32 v25, vcc_lo, s2, v35, vcc_lo
	global_store_b64 v[4:5], v[0:1], off
	v_add_co_u32 v0, vcc_lo, v24, s4
	v_add_co_ci_u32_e32 v1, vcc_lo, s5, v25, vcc_lo
	global_store_b64 v[22:23], v[8:9], off
	;; [unrolled: 3-line block ×7, first 2 shown]
	global_store_b64 v[8:9], v[16:17], off
	global_store_b64 v[10:11], v[2:3], off
	;; [unrolled: 1-line block ×4, first 2 shown]
.LBB0_2:
	s_nop 0
	s_sendmsg sendmsg(MSG_DEALLOC_VGPRS)
	s_endpgm
	.section	.rodata,"a",@progbits
	.p2align	6, 0x0
	.amdhsa_kernel bluestein_single_fwd_len3750_dim1_sp_op_CI_CI
		.amdhsa_group_segment_fixed_size 30000
		.amdhsa_private_segment_fixed_size 584
		.amdhsa_kernarg_size 104
		.amdhsa_user_sgpr_count 15
		.amdhsa_user_sgpr_dispatch_ptr 0
		.amdhsa_user_sgpr_queue_ptr 0
		.amdhsa_user_sgpr_kernarg_segment_ptr 1
		.amdhsa_user_sgpr_dispatch_id 0
		.amdhsa_user_sgpr_private_segment_size 0
		.amdhsa_wavefront_size32 1
		.amdhsa_uses_dynamic_stack 0
		.amdhsa_enable_private_segment 1
		.amdhsa_system_sgpr_workgroup_id_x 1
		.amdhsa_system_sgpr_workgroup_id_y 0
		.amdhsa_system_sgpr_workgroup_id_z 0
		.amdhsa_system_sgpr_workgroup_info 0
		.amdhsa_system_vgpr_workitem_id 0
		.amdhsa_next_free_vgpr 256
		.amdhsa_next_free_sgpr 20
		.amdhsa_reserve_vcc 1
		.amdhsa_float_round_mode_32 0
		.amdhsa_float_round_mode_16_64 0
		.amdhsa_float_denorm_mode_32 3
		.amdhsa_float_denorm_mode_16_64 3
		.amdhsa_dx10_clamp 1
		.amdhsa_ieee_mode 1
		.amdhsa_fp16_overflow 0
		.amdhsa_workgroup_processor_mode 1
		.amdhsa_memory_ordered 1
		.amdhsa_forward_progress 0
		.amdhsa_shared_vgpr_count 0
		.amdhsa_exception_fp_ieee_invalid_op 0
		.amdhsa_exception_fp_denorm_src 0
		.amdhsa_exception_fp_ieee_div_zero 0
		.amdhsa_exception_fp_ieee_overflow 0
		.amdhsa_exception_fp_ieee_underflow 0
		.amdhsa_exception_fp_ieee_inexact 0
		.amdhsa_exception_int_div_zero 0
	.end_amdhsa_kernel
	.text
.Lfunc_end0:
	.size	bluestein_single_fwd_len3750_dim1_sp_op_CI_CI, .Lfunc_end0-bluestein_single_fwd_len3750_dim1_sp_op_CI_CI
                                        ; -- End function
	.section	.AMDGPU.csdata,"",@progbits
; Kernel info:
; codeLenInByte = 39860
; NumSgprs: 22
; NumVgprs: 256
; ScratchSize: 584
; MemoryBound: 0
; FloatMode: 240
; IeeeMode: 1
; LDSByteSize: 30000 bytes/workgroup (compile time only)
; SGPRBlocks: 2
; VGPRBlocks: 31
; NumSGPRsForWavesPerEU: 22
; NumVGPRsForWavesPerEU: 256
; Occupancy: 4
; WaveLimiterHint : 1
; COMPUTE_PGM_RSRC2:SCRATCH_EN: 1
; COMPUTE_PGM_RSRC2:USER_SGPR: 15
; COMPUTE_PGM_RSRC2:TRAP_HANDLER: 0
; COMPUTE_PGM_RSRC2:TGID_X_EN: 1
; COMPUTE_PGM_RSRC2:TGID_Y_EN: 0
; COMPUTE_PGM_RSRC2:TGID_Z_EN: 0
; COMPUTE_PGM_RSRC2:TIDIG_COMP_CNT: 0
	.text
	.p2alignl 7, 3214868480
	.fill 96, 4, 3214868480
	.type	__hip_cuid_8828eee71c2de20e,@object ; @__hip_cuid_8828eee71c2de20e
	.section	.bss,"aw",@nobits
	.globl	__hip_cuid_8828eee71c2de20e
__hip_cuid_8828eee71c2de20e:
	.byte	0                               ; 0x0
	.size	__hip_cuid_8828eee71c2de20e, 1

	.ident	"AMD clang version 19.0.0git (https://github.com/RadeonOpenCompute/llvm-project roc-6.4.0 25133 c7fe45cf4b819c5991fe208aaa96edf142730f1d)"
	.section	".note.GNU-stack","",@progbits
	.addrsig
	.addrsig_sym __hip_cuid_8828eee71c2de20e
	.amdgpu_metadata
---
amdhsa.kernels:
  - .args:
      - .actual_access:  read_only
        .address_space:  global
        .offset:         0
        .size:           8
        .value_kind:     global_buffer
      - .actual_access:  read_only
        .address_space:  global
        .offset:         8
        .size:           8
        .value_kind:     global_buffer
      - .actual_access:  read_only
        .address_space:  global
        .offset:         16
        .size:           8
        .value_kind:     global_buffer
      - .actual_access:  read_only
        .address_space:  global
        .offset:         24
        .size:           8
        .value_kind:     global_buffer
      - .actual_access:  read_only
        .address_space:  global
        .offset:         32
        .size:           8
        .value_kind:     global_buffer
      - .offset:         40
        .size:           8
        .value_kind:     by_value
      - .address_space:  global
        .offset:         48
        .size:           8
        .value_kind:     global_buffer
      - .address_space:  global
        .offset:         56
        .size:           8
        .value_kind:     global_buffer
      - .address_space:  global
        .offset:         64
        .size:           8
        .value_kind:     global_buffer
      - .address_space:  global
        .offset:         72
        .size:           8
        .value_kind:     global_buffer
      - .offset:         80
        .size:           4
        .value_kind:     by_value
      - .address_space:  global
        .offset:         88
        .size:           8
        .value_kind:     global_buffer
      - .address_space:  global
        .offset:         96
        .size:           8
        .value_kind:     global_buffer
    .group_segment_fixed_size: 30000
    .kernarg_segment_align: 8
    .kernarg_segment_size: 104
    .language:       OpenCL C
    .language_version:
      - 2
      - 0
    .max_flat_workgroup_size: 125
    .name:           bluestein_single_fwd_len3750_dim1_sp_op_CI_CI
    .private_segment_fixed_size: 584
    .sgpr_count:     22
    .sgpr_spill_count: 0
    .symbol:         bluestein_single_fwd_len3750_dim1_sp_op_CI_CI.kd
    .uniform_work_group_size: 1
    .uses_dynamic_stack: false
    .vgpr_count:     256
    .vgpr_spill_count: 145
    .wavefront_size: 32
    .workgroup_processor_mode: 1
amdhsa.target:   amdgcn-amd-amdhsa--gfx1100
amdhsa.version:
  - 1
  - 2
...

	.end_amdgpu_metadata
